;; amdgpu-corpus repo=ROCm/composable_kernel kind=compiled arch=gfx1201 opt=O3
	.amdgcn_target "amdgcn-amd-amdhsa--gfx1201"
	.amdhsa_code_object_version 6
	.section	.text._ZN2ckL12flush_icacheEv,"axG",@progbits,_ZN2ckL12flush_icacheEv,comdat
	.globl	_ZN2ckL12flush_icacheEv         ; -- Begin function _ZN2ckL12flush_icacheEv
	.p2align	8
	.type	_ZN2ckL12flush_icacheEv,@function
_ZN2ckL12flush_icacheEv:                ; @_ZN2ckL12flush_icacheEv
; %bb.0:
	;;#ASMSTART
	s_icache_inv 
	s_nop 0 
	s_nop 0 
	;; [unrolled: 1-line block ×16, first 2 shown]
	
	;;#ASMEND
	s_endpgm
	.section	.rodata,"a",@progbits
	.p2align	6, 0x0
	.amdhsa_kernel _ZN2ckL12flush_icacheEv
		.amdhsa_group_segment_fixed_size 0
		.amdhsa_private_segment_fixed_size 0
		.amdhsa_kernarg_size 0
		.amdhsa_user_sgpr_count 0
		.amdhsa_user_sgpr_dispatch_ptr 0
		.amdhsa_user_sgpr_queue_ptr 0
		.amdhsa_user_sgpr_kernarg_segment_ptr 0
		.amdhsa_user_sgpr_dispatch_id 0
		.amdhsa_user_sgpr_private_segment_size 0
		.amdhsa_wavefront_size32 1
		.amdhsa_uses_dynamic_stack 0
		.amdhsa_enable_private_segment 0
		.amdhsa_system_sgpr_workgroup_id_x 1
		.amdhsa_system_sgpr_workgroup_id_y 0
		.amdhsa_system_sgpr_workgroup_id_z 0
		.amdhsa_system_sgpr_workgroup_info 0
		.amdhsa_system_vgpr_workitem_id 0
		.amdhsa_next_free_vgpr 1
		.amdhsa_next_free_sgpr 1
		.amdhsa_reserve_vcc 0
		.amdhsa_float_round_mode_32 0
		.amdhsa_float_round_mode_16_64 0
		.amdhsa_float_denorm_mode_32 3
		.amdhsa_float_denorm_mode_16_64 3
		.amdhsa_fp16_overflow 0
		.amdhsa_workgroup_processor_mode 1
		.amdhsa_memory_ordered 1
		.amdhsa_forward_progress 1
		.amdhsa_inst_pref_size 1
		.amdhsa_round_robin_scheduling 0
		.amdhsa_exception_fp_ieee_invalid_op 0
		.amdhsa_exception_fp_denorm_src 0
		.amdhsa_exception_fp_ieee_div_zero 0
		.amdhsa_exception_fp_ieee_overflow 0
		.amdhsa_exception_fp_ieee_underflow 0
		.amdhsa_exception_fp_ieee_inexact 0
		.amdhsa_exception_int_div_zero 0
	.end_amdhsa_kernel
	.section	.text._ZN2ckL12flush_icacheEv,"axG",@progbits,_ZN2ckL12flush_icacheEv,comdat
.Lfunc_end0:
	.size	_ZN2ckL12flush_icacheEv, .Lfunc_end0-_ZN2ckL12flush_icacheEv
                                        ; -- End function
	.set _ZN2ckL12flush_icacheEv.num_vgpr, 0
	.set _ZN2ckL12flush_icacheEv.num_agpr, 0
	.set _ZN2ckL12flush_icacheEv.numbered_sgpr, 0
	.set _ZN2ckL12flush_icacheEv.num_named_barrier, 0
	.set _ZN2ckL12flush_icacheEv.private_seg_size, 0
	.set _ZN2ckL12flush_icacheEv.uses_vcc, 0
	.set _ZN2ckL12flush_icacheEv.uses_flat_scratch, 0
	.set _ZN2ckL12flush_icacheEv.has_dyn_sized_stack, 0
	.set _ZN2ckL12flush_icacheEv.has_recursion, 0
	.set _ZN2ckL12flush_icacheEv.has_indirect_call, 0
	.section	.AMDGPU.csdata,"",@progbits
; Kernel info:
; codeLenInByte = 4
; TotalNumSgprs: 0
; NumVgprs: 0
; ScratchSize: 0
; MemoryBound: 0
; FloatMode: 240
; IeeeMode: 1
; LDSByteSize: 0 bytes/workgroup (compile time only)
; SGPRBlocks: 0
; VGPRBlocks: 0
; NumSGPRsForWavesPerEU: 1
; NumVGPRsForWavesPerEU: 1
; Occupancy: 16
; WaveLimiterHint : 0
; COMPUTE_PGM_RSRC2:SCRATCH_EN: 0
; COMPUTE_PGM_RSRC2:USER_SGPR: 0
; COMPUTE_PGM_RSRC2:TRAP_HANDLER: 0
; COMPUTE_PGM_RSRC2:TGID_X_EN: 1
; COMPUTE_PGM_RSRC2:TGID_Y_EN: 0
; COMPUTE_PGM_RSRC2:TGID_Z_EN: 0
; COMPUTE_PGM_RSRC2:TIDIG_COMP_CNT: 0
	.section	.text._ZN2ck27kernel_gemm_xdl_cshuffle_v1INS_43GridwiseGemm_k0mk1_k0nk1_mn_xdl_cshuffle_v1INS_13tensor_layout4gemm8RowMajorENS3_11ColumnMajorES4_NS_9f8_fnuz_tES6_ffS6_NS_16tensor_operation12element_wise11PassThroughES9_S9_LNS7_6device18GemmSpecializationE0ELNS_25InMemoryDataOperationEnumE0ELi1ELi256ELi256ELi128ELi64ELi16ELi16ELi16ELi16ELi8ELi4ENS_8SequenceIJLi4ELi64ELi1EEEENSD_IJLi1ELi0ELi2EEEESF_Li2ELi16ELi16ELb0ELi1ESE_SF_SF_Li2ELi8ELi8ELb0ELi1ELi1ELi1ENSD_IJLi1ELi32ELi1ELi8EEEELi4ELNS_13LoopSchedulerE0ELNS_15PipelineVersionE0ES6_S6_EELb1EEEvNT_8ArgumentE,"axG",@progbits,_ZN2ck27kernel_gemm_xdl_cshuffle_v1INS_43GridwiseGemm_k0mk1_k0nk1_mn_xdl_cshuffle_v1INS_13tensor_layout4gemm8RowMajorENS3_11ColumnMajorES4_NS_9f8_fnuz_tES6_ffS6_NS_16tensor_operation12element_wise11PassThroughES9_S9_LNS7_6device18GemmSpecializationE0ELNS_25InMemoryDataOperationEnumE0ELi1ELi256ELi256ELi128ELi64ELi16ELi16ELi16ELi16ELi8ELi4ENS_8SequenceIJLi4ELi64ELi1EEEENSD_IJLi1ELi0ELi2EEEESF_Li2ELi16ELi16ELb0ELi1ESE_SF_SF_Li2ELi8ELi8ELb0ELi1ELi1ELi1ENSD_IJLi1ELi32ELi1ELi8EEEELi4ELNS_13LoopSchedulerE0ELNS_15PipelineVersionE0ES6_S6_EELb1EEEvNT_8ArgumentE,comdat
	.protected	_ZN2ck27kernel_gemm_xdl_cshuffle_v1INS_43GridwiseGemm_k0mk1_k0nk1_mn_xdl_cshuffle_v1INS_13tensor_layout4gemm8RowMajorENS3_11ColumnMajorES4_NS_9f8_fnuz_tES6_ffS6_NS_16tensor_operation12element_wise11PassThroughES9_S9_LNS7_6device18GemmSpecializationE0ELNS_25InMemoryDataOperationEnumE0ELi1ELi256ELi256ELi128ELi64ELi16ELi16ELi16ELi16ELi8ELi4ENS_8SequenceIJLi4ELi64ELi1EEEENSD_IJLi1ELi0ELi2EEEESF_Li2ELi16ELi16ELb0ELi1ESE_SF_SF_Li2ELi8ELi8ELb0ELi1ELi1ELi1ENSD_IJLi1ELi32ELi1ELi8EEEELi4ELNS_13LoopSchedulerE0ELNS_15PipelineVersionE0ES6_S6_EELb1EEEvNT_8ArgumentE ; -- Begin function _ZN2ck27kernel_gemm_xdl_cshuffle_v1INS_43GridwiseGemm_k0mk1_k0nk1_mn_xdl_cshuffle_v1INS_13tensor_layout4gemm8RowMajorENS3_11ColumnMajorES4_NS_9f8_fnuz_tES6_ffS6_NS_16tensor_operation12element_wise11PassThroughES9_S9_LNS7_6device18GemmSpecializationE0ELNS_25InMemoryDataOperationEnumE0ELi1ELi256ELi256ELi128ELi64ELi16ELi16ELi16ELi16ELi8ELi4ENS_8SequenceIJLi4ELi64ELi1EEEENSD_IJLi1ELi0ELi2EEEESF_Li2ELi16ELi16ELb0ELi1ESE_SF_SF_Li2ELi8ELi8ELb0ELi1ELi1ELi1ENSD_IJLi1ELi32ELi1ELi8EEEELi4ELNS_13LoopSchedulerE0ELNS_15PipelineVersionE0ES6_S6_EELb1EEEvNT_8ArgumentE
	.globl	_ZN2ck27kernel_gemm_xdl_cshuffle_v1INS_43GridwiseGemm_k0mk1_k0nk1_mn_xdl_cshuffle_v1INS_13tensor_layout4gemm8RowMajorENS3_11ColumnMajorES4_NS_9f8_fnuz_tES6_ffS6_NS_16tensor_operation12element_wise11PassThroughES9_S9_LNS7_6device18GemmSpecializationE0ELNS_25InMemoryDataOperationEnumE0ELi1ELi256ELi256ELi128ELi64ELi16ELi16ELi16ELi16ELi8ELi4ENS_8SequenceIJLi4ELi64ELi1EEEENSD_IJLi1ELi0ELi2EEEESF_Li2ELi16ELi16ELb0ELi1ESE_SF_SF_Li2ELi8ELi8ELb0ELi1ELi1ELi1ENSD_IJLi1ELi32ELi1ELi8EEEELi4ELNS_13LoopSchedulerE0ELNS_15PipelineVersionE0ES6_S6_EELb1EEEvNT_8ArgumentE
	.p2align	8
	.type	_ZN2ck27kernel_gemm_xdl_cshuffle_v1INS_43GridwiseGemm_k0mk1_k0nk1_mn_xdl_cshuffle_v1INS_13tensor_layout4gemm8RowMajorENS3_11ColumnMajorES4_NS_9f8_fnuz_tES6_ffS6_NS_16tensor_operation12element_wise11PassThroughES9_S9_LNS7_6device18GemmSpecializationE0ELNS_25InMemoryDataOperationEnumE0ELi1ELi256ELi256ELi128ELi64ELi16ELi16ELi16ELi16ELi8ELi4ENS_8SequenceIJLi4ELi64ELi1EEEENSD_IJLi1ELi0ELi2EEEESF_Li2ELi16ELi16ELb0ELi1ESE_SF_SF_Li2ELi8ELi8ELb0ELi1ELi1ELi1ENSD_IJLi1ELi32ELi1ELi8EEEELi4ELNS_13LoopSchedulerE0ELNS_15PipelineVersionE0ES6_S6_EELb1EEEvNT_8ArgumentE,@function
_ZN2ck27kernel_gemm_xdl_cshuffle_v1INS_43GridwiseGemm_k0mk1_k0nk1_mn_xdl_cshuffle_v1INS_13tensor_layout4gemm8RowMajorENS3_11ColumnMajorES4_NS_9f8_fnuz_tES6_ffS6_NS_16tensor_operation12element_wise11PassThroughES9_S9_LNS7_6device18GemmSpecializationE0ELNS_25InMemoryDataOperationEnumE0ELi1ELi256ELi256ELi128ELi64ELi16ELi16ELi16ELi16ELi8ELi4ENS_8SequenceIJLi4ELi64ELi1EEEENSD_IJLi1ELi0ELi2EEEESF_Li2ELi16ELi16ELb0ELi1ESE_SF_SF_Li2ELi8ELi8ELb0ELi1ELi1ELi1ENSD_IJLi1ELi32ELi1ELi8EEEELi4ELNS_13LoopSchedulerE0ELNS_15PipelineVersionE0ES6_S6_EELb1EEEvNT_8ArgumentE: ; @_ZN2ck27kernel_gemm_xdl_cshuffle_v1INS_43GridwiseGemm_k0mk1_k0nk1_mn_xdl_cshuffle_v1INS_13tensor_layout4gemm8RowMajorENS3_11ColumnMajorES4_NS_9f8_fnuz_tES6_ffS6_NS_16tensor_operation12element_wise11PassThroughES9_S9_LNS7_6device18GemmSpecializationE0ELNS_25InMemoryDataOperationEnumE0ELi1ELi256ELi256ELi128ELi64ELi16ELi16ELi16ELi16ELi8ELi4ENS_8SequenceIJLi4ELi64ELi1EEEENSD_IJLi1ELi0ELi2EEEESF_Li2ELi16ELi16ELb0ELi1ESE_SF_SF_Li2ELi8ELi8ELb0ELi1ELi1ELi1ENSD_IJLi1ELi32ELi1ELi8EEEELi4ELNS_13LoopSchedulerE0ELNS_15PipelineVersionE0ES6_S6_EELb1EEEvNT_8ArgumentE
; %bb.0:
	s_endpgm
	.section	.rodata,"a",@progbits
	.p2align	6, 0x0
	.amdhsa_kernel _ZN2ck27kernel_gemm_xdl_cshuffle_v1INS_43GridwiseGemm_k0mk1_k0nk1_mn_xdl_cshuffle_v1INS_13tensor_layout4gemm8RowMajorENS3_11ColumnMajorES4_NS_9f8_fnuz_tES6_ffS6_NS_16tensor_operation12element_wise11PassThroughES9_S9_LNS7_6device18GemmSpecializationE0ELNS_25InMemoryDataOperationEnumE0ELi1ELi256ELi256ELi128ELi64ELi16ELi16ELi16ELi16ELi8ELi4ENS_8SequenceIJLi4ELi64ELi1EEEENSD_IJLi1ELi0ELi2EEEESF_Li2ELi16ELi16ELb0ELi1ESE_SF_SF_Li2ELi8ELi8ELb0ELi1ELi1ELi1ENSD_IJLi1ELi32ELi1ELi8EEEELi4ELNS_13LoopSchedulerE0ELNS_15PipelineVersionE0ES6_S6_EELb1EEEvNT_8ArgumentE
		.amdhsa_group_segment_fixed_size 0
		.amdhsa_private_segment_fixed_size 0
		.amdhsa_kernarg_size 96
		.amdhsa_user_sgpr_count 2
		.amdhsa_user_sgpr_dispatch_ptr 0
		.amdhsa_user_sgpr_queue_ptr 0
		.amdhsa_user_sgpr_kernarg_segment_ptr 1
		.amdhsa_user_sgpr_dispatch_id 0
		.amdhsa_user_sgpr_private_segment_size 0
		.amdhsa_wavefront_size32 1
		.amdhsa_uses_dynamic_stack 0
		.amdhsa_enable_private_segment 0
		.amdhsa_system_sgpr_workgroup_id_x 1
		.amdhsa_system_sgpr_workgroup_id_y 0
		.amdhsa_system_sgpr_workgroup_id_z 0
		.amdhsa_system_sgpr_workgroup_info 0
		.amdhsa_system_vgpr_workitem_id 0
		.amdhsa_next_free_vgpr 1
		.amdhsa_next_free_sgpr 1
		.amdhsa_reserve_vcc 0
		.amdhsa_float_round_mode_32 0
		.amdhsa_float_round_mode_16_64 0
		.amdhsa_float_denorm_mode_32 3
		.amdhsa_float_denorm_mode_16_64 3
		.amdhsa_fp16_overflow 0
		.amdhsa_workgroup_processor_mode 1
		.amdhsa_memory_ordered 1
		.amdhsa_forward_progress 1
		.amdhsa_inst_pref_size 1
		.amdhsa_round_robin_scheduling 0
		.amdhsa_exception_fp_ieee_invalid_op 0
		.amdhsa_exception_fp_denorm_src 0
		.amdhsa_exception_fp_ieee_div_zero 0
		.amdhsa_exception_fp_ieee_overflow 0
		.amdhsa_exception_fp_ieee_underflow 0
		.amdhsa_exception_fp_ieee_inexact 0
		.amdhsa_exception_int_div_zero 0
	.end_amdhsa_kernel
	.section	.text._ZN2ck27kernel_gemm_xdl_cshuffle_v1INS_43GridwiseGemm_k0mk1_k0nk1_mn_xdl_cshuffle_v1INS_13tensor_layout4gemm8RowMajorENS3_11ColumnMajorES4_NS_9f8_fnuz_tES6_ffS6_NS_16tensor_operation12element_wise11PassThroughES9_S9_LNS7_6device18GemmSpecializationE0ELNS_25InMemoryDataOperationEnumE0ELi1ELi256ELi256ELi128ELi64ELi16ELi16ELi16ELi16ELi8ELi4ENS_8SequenceIJLi4ELi64ELi1EEEENSD_IJLi1ELi0ELi2EEEESF_Li2ELi16ELi16ELb0ELi1ESE_SF_SF_Li2ELi8ELi8ELb0ELi1ELi1ELi1ENSD_IJLi1ELi32ELi1ELi8EEEELi4ELNS_13LoopSchedulerE0ELNS_15PipelineVersionE0ES6_S6_EELb1EEEvNT_8ArgumentE,"axG",@progbits,_ZN2ck27kernel_gemm_xdl_cshuffle_v1INS_43GridwiseGemm_k0mk1_k0nk1_mn_xdl_cshuffle_v1INS_13tensor_layout4gemm8RowMajorENS3_11ColumnMajorES4_NS_9f8_fnuz_tES6_ffS6_NS_16tensor_operation12element_wise11PassThroughES9_S9_LNS7_6device18GemmSpecializationE0ELNS_25InMemoryDataOperationEnumE0ELi1ELi256ELi256ELi128ELi64ELi16ELi16ELi16ELi16ELi8ELi4ENS_8SequenceIJLi4ELi64ELi1EEEENSD_IJLi1ELi0ELi2EEEESF_Li2ELi16ELi16ELb0ELi1ESE_SF_SF_Li2ELi8ELi8ELb0ELi1ELi1ELi1ENSD_IJLi1ELi32ELi1ELi8EEEELi4ELNS_13LoopSchedulerE0ELNS_15PipelineVersionE0ES6_S6_EELb1EEEvNT_8ArgumentE,comdat
.Lfunc_end1:
	.size	_ZN2ck27kernel_gemm_xdl_cshuffle_v1INS_43GridwiseGemm_k0mk1_k0nk1_mn_xdl_cshuffle_v1INS_13tensor_layout4gemm8RowMajorENS3_11ColumnMajorES4_NS_9f8_fnuz_tES6_ffS6_NS_16tensor_operation12element_wise11PassThroughES9_S9_LNS7_6device18GemmSpecializationE0ELNS_25InMemoryDataOperationEnumE0ELi1ELi256ELi256ELi128ELi64ELi16ELi16ELi16ELi16ELi8ELi4ENS_8SequenceIJLi4ELi64ELi1EEEENSD_IJLi1ELi0ELi2EEEESF_Li2ELi16ELi16ELb0ELi1ESE_SF_SF_Li2ELi8ELi8ELb0ELi1ELi1ELi1ENSD_IJLi1ELi32ELi1ELi8EEEELi4ELNS_13LoopSchedulerE0ELNS_15PipelineVersionE0ES6_S6_EELb1EEEvNT_8ArgumentE, .Lfunc_end1-_ZN2ck27kernel_gemm_xdl_cshuffle_v1INS_43GridwiseGemm_k0mk1_k0nk1_mn_xdl_cshuffle_v1INS_13tensor_layout4gemm8RowMajorENS3_11ColumnMajorES4_NS_9f8_fnuz_tES6_ffS6_NS_16tensor_operation12element_wise11PassThroughES9_S9_LNS7_6device18GemmSpecializationE0ELNS_25InMemoryDataOperationEnumE0ELi1ELi256ELi256ELi128ELi64ELi16ELi16ELi16ELi16ELi8ELi4ENS_8SequenceIJLi4ELi64ELi1EEEENSD_IJLi1ELi0ELi2EEEESF_Li2ELi16ELi16ELb0ELi1ESE_SF_SF_Li2ELi8ELi8ELb0ELi1ELi1ELi1ENSD_IJLi1ELi32ELi1ELi8EEEELi4ELNS_13LoopSchedulerE0ELNS_15PipelineVersionE0ES6_S6_EELb1EEEvNT_8ArgumentE
                                        ; -- End function
	.set _ZN2ck27kernel_gemm_xdl_cshuffle_v1INS_43GridwiseGemm_k0mk1_k0nk1_mn_xdl_cshuffle_v1INS_13tensor_layout4gemm8RowMajorENS3_11ColumnMajorES4_NS_9f8_fnuz_tES6_ffS6_NS_16tensor_operation12element_wise11PassThroughES9_S9_LNS7_6device18GemmSpecializationE0ELNS_25InMemoryDataOperationEnumE0ELi1ELi256ELi256ELi128ELi64ELi16ELi16ELi16ELi16ELi8ELi4ENS_8SequenceIJLi4ELi64ELi1EEEENSD_IJLi1ELi0ELi2EEEESF_Li2ELi16ELi16ELb0ELi1ESE_SF_SF_Li2ELi8ELi8ELb0ELi1ELi1ELi1ENSD_IJLi1ELi32ELi1ELi8EEEELi4ELNS_13LoopSchedulerE0ELNS_15PipelineVersionE0ES6_S6_EELb1EEEvNT_8ArgumentE.num_vgpr, 0
	.set _ZN2ck27kernel_gemm_xdl_cshuffle_v1INS_43GridwiseGemm_k0mk1_k0nk1_mn_xdl_cshuffle_v1INS_13tensor_layout4gemm8RowMajorENS3_11ColumnMajorES4_NS_9f8_fnuz_tES6_ffS6_NS_16tensor_operation12element_wise11PassThroughES9_S9_LNS7_6device18GemmSpecializationE0ELNS_25InMemoryDataOperationEnumE0ELi1ELi256ELi256ELi128ELi64ELi16ELi16ELi16ELi16ELi8ELi4ENS_8SequenceIJLi4ELi64ELi1EEEENSD_IJLi1ELi0ELi2EEEESF_Li2ELi16ELi16ELb0ELi1ESE_SF_SF_Li2ELi8ELi8ELb0ELi1ELi1ELi1ENSD_IJLi1ELi32ELi1ELi8EEEELi4ELNS_13LoopSchedulerE0ELNS_15PipelineVersionE0ES6_S6_EELb1EEEvNT_8ArgumentE.num_agpr, 0
	.set _ZN2ck27kernel_gemm_xdl_cshuffle_v1INS_43GridwiseGemm_k0mk1_k0nk1_mn_xdl_cshuffle_v1INS_13tensor_layout4gemm8RowMajorENS3_11ColumnMajorES4_NS_9f8_fnuz_tES6_ffS6_NS_16tensor_operation12element_wise11PassThroughES9_S9_LNS7_6device18GemmSpecializationE0ELNS_25InMemoryDataOperationEnumE0ELi1ELi256ELi256ELi128ELi64ELi16ELi16ELi16ELi16ELi8ELi4ENS_8SequenceIJLi4ELi64ELi1EEEENSD_IJLi1ELi0ELi2EEEESF_Li2ELi16ELi16ELb0ELi1ESE_SF_SF_Li2ELi8ELi8ELb0ELi1ELi1ELi1ENSD_IJLi1ELi32ELi1ELi8EEEELi4ELNS_13LoopSchedulerE0ELNS_15PipelineVersionE0ES6_S6_EELb1EEEvNT_8ArgumentE.numbered_sgpr, 0
	.set _ZN2ck27kernel_gemm_xdl_cshuffle_v1INS_43GridwiseGemm_k0mk1_k0nk1_mn_xdl_cshuffle_v1INS_13tensor_layout4gemm8RowMajorENS3_11ColumnMajorES4_NS_9f8_fnuz_tES6_ffS6_NS_16tensor_operation12element_wise11PassThroughES9_S9_LNS7_6device18GemmSpecializationE0ELNS_25InMemoryDataOperationEnumE0ELi1ELi256ELi256ELi128ELi64ELi16ELi16ELi16ELi16ELi8ELi4ENS_8SequenceIJLi4ELi64ELi1EEEENSD_IJLi1ELi0ELi2EEEESF_Li2ELi16ELi16ELb0ELi1ESE_SF_SF_Li2ELi8ELi8ELb0ELi1ELi1ELi1ENSD_IJLi1ELi32ELi1ELi8EEEELi4ELNS_13LoopSchedulerE0ELNS_15PipelineVersionE0ES6_S6_EELb1EEEvNT_8ArgumentE.num_named_barrier, 0
	.set _ZN2ck27kernel_gemm_xdl_cshuffle_v1INS_43GridwiseGemm_k0mk1_k0nk1_mn_xdl_cshuffle_v1INS_13tensor_layout4gemm8RowMajorENS3_11ColumnMajorES4_NS_9f8_fnuz_tES6_ffS6_NS_16tensor_operation12element_wise11PassThroughES9_S9_LNS7_6device18GemmSpecializationE0ELNS_25InMemoryDataOperationEnumE0ELi1ELi256ELi256ELi128ELi64ELi16ELi16ELi16ELi16ELi8ELi4ENS_8SequenceIJLi4ELi64ELi1EEEENSD_IJLi1ELi0ELi2EEEESF_Li2ELi16ELi16ELb0ELi1ESE_SF_SF_Li2ELi8ELi8ELb0ELi1ELi1ELi1ENSD_IJLi1ELi32ELi1ELi8EEEELi4ELNS_13LoopSchedulerE0ELNS_15PipelineVersionE0ES6_S6_EELb1EEEvNT_8ArgumentE.private_seg_size, 0
	.set _ZN2ck27kernel_gemm_xdl_cshuffle_v1INS_43GridwiseGemm_k0mk1_k0nk1_mn_xdl_cshuffle_v1INS_13tensor_layout4gemm8RowMajorENS3_11ColumnMajorES4_NS_9f8_fnuz_tES6_ffS6_NS_16tensor_operation12element_wise11PassThroughES9_S9_LNS7_6device18GemmSpecializationE0ELNS_25InMemoryDataOperationEnumE0ELi1ELi256ELi256ELi128ELi64ELi16ELi16ELi16ELi16ELi8ELi4ENS_8SequenceIJLi4ELi64ELi1EEEENSD_IJLi1ELi0ELi2EEEESF_Li2ELi16ELi16ELb0ELi1ESE_SF_SF_Li2ELi8ELi8ELb0ELi1ELi1ELi1ENSD_IJLi1ELi32ELi1ELi8EEEELi4ELNS_13LoopSchedulerE0ELNS_15PipelineVersionE0ES6_S6_EELb1EEEvNT_8ArgumentE.uses_vcc, 0
	.set _ZN2ck27kernel_gemm_xdl_cshuffle_v1INS_43GridwiseGemm_k0mk1_k0nk1_mn_xdl_cshuffle_v1INS_13tensor_layout4gemm8RowMajorENS3_11ColumnMajorES4_NS_9f8_fnuz_tES6_ffS6_NS_16tensor_operation12element_wise11PassThroughES9_S9_LNS7_6device18GemmSpecializationE0ELNS_25InMemoryDataOperationEnumE0ELi1ELi256ELi256ELi128ELi64ELi16ELi16ELi16ELi16ELi8ELi4ENS_8SequenceIJLi4ELi64ELi1EEEENSD_IJLi1ELi0ELi2EEEESF_Li2ELi16ELi16ELb0ELi1ESE_SF_SF_Li2ELi8ELi8ELb0ELi1ELi1ELi1ENSD_IJLi1ELi32ELi1ELi8EEEELi4ELNS_13LoopSchedulerE0ELNS_15PipelineVersionE0ES6_S6_EELb1EEEvNT_8ArgumentE.uses_flat_scratch, 0
	.set _ZN2ck27kernel_gemm_xdl_cshuffle_v1INS_43GridwiseGemm_k0mk1_k0nk1_mn_xdl_cshuffle_v1INS_13tensor_layout4gemm8RowMajorENS3_11ColumnMajorES4_NS_9f8_fnuz_tES6_ffS6_NS_16tensor_operation12element_wise11PassThroughES9_S9_LNS7_6device18GemmSpecializationE0ELNS_25InMemoryDataOperationEnumE0ELi1ELi256ELi256ELi128ELi64ELi16ELi16ELi16ELi16ELi8ELi4ENS_8SequenceIJLi4ELi64ELi1EEEENSD_IJLi1ELi0ELi2EEEESF_Li2ELi16ELi16ELb0ELi1ESE_SF_SF_Li2ELi8ELi8ELb0ELi1ELi1ELi1ENSD_IJLi1ELi32ELi1ELi8EEEELi4ELNS_13LoopSchedulerE0ELNS_15PipelineVersionE0ES6_S6_EELb1EEEvNT_8ArgumentE.has_dyn_sized_stack, 0
	.set _ZN2ck27kernel_gemm_xdl_cshuffle_v1INS_43GridwiseGemm_k0mk1_k0nk1_mn_xdl_cshuffle_v1INS_13tensor_layout4gemm8RowMajorENS3_11ColumnMajorES4_NS_9f8_fnuz_tES6_ffS6_NS_16tensor_operation12element_wise11PassThroughES9_S9_LNS7_6device18GemmSpecializationE0ELNS_25InMemoryDataOperationEnumE0ELi1ELi256ELi256ELi128ELi64ELi16ELi16ELi16ELi16ELi8ELi4ENS_8SequenceIJLi4ELi64ELi1EEEENSD_IJLi1ELi0ELi2EEEESF_Li2ELi16ELi16ELb0ELi1ESE_SF_SF_Li2ELi8ELi8ELb0ELi1ELi1ELi1ENSD_IJLi1ELi32ELi1ELi8EEEELi4ELNS_13LoopSchedulerE0ELNS_15PipelineVersionE0ES6_S6_EELb1EEEvNT_8ArgumentE.has_recursion, 0
	.set _ZN2ck27kernel_gemm_xdl_cshuffle_v1INS_43GridwiseGemm_k0mk1_k0nk1_mn_xdl_cshuffle_v1INS_13tensor_layout4gemm8RowMajorENS3_11ColumnMajorES4_NS_9f8_fnuz_tES6_ffS6_NS_16tensor_operation12element_wise11PassThroughES9_S9_LNS7_6device18GemmSpecializationE0ELNS_25InMemoryDataOperationEnumE0ELi1ELi256ELi256ELi128ELi64ELi16ELi16ELi16ELi16ELi8ELi4ENS_8SequenceIJLi4ELi64ELi1EEEENSD_IJLi1ELi0ELi2EEEESF_Li2ELi16ELi16ELb0ELi1ESE_SF_SF_Li2ELi8ELi8ELb0ELi1ELi1ELi1ENSD_IJLi1ELi32ELi1ELi8EEEELi4ELNS_13LoopSchedulerE0ELNS_15PipelineVersionE0ES6_S6_EELb1EEEvNT_8ArgumentE.has_indirect_call, 0
	.section	.AMDGPU.csdata,"",@progbits
; Kernel info:
; codeLenInByte = 4
; TotalNumSgprs: 0
; NumVgprs: 0
; ScratchSize: 0
; MemoryBound: 0
; FloatMode: 240
; IeeeMode: 1
; LDSByteSize: 0 bytes/workgroup (compile time only)
; SGPRBlocks: 0
; VGPRBlocks: 0
; NumSGPRsForWavesPerEU: 1
; NumVGPRsForWavesPerEU: 1
; Occupancy: 16
; WaveLimiterHint : 0
; COMPUTE_PGM_RSRC2:SCRATCH_EN: 0
; COMPUTE_PGM_RSRC2:USER_SGPR: 2
; COMPUTE_PGM_RSRC2:TRAP_HANDLER: 0
; COMPUTE_PGM_RSRC2:TGID_X_EN: 1
; COMPUTE_PGM_RSRC2:TGID_Y_EN: 0
; COMPUTE_PGM_RSRC2:TGID_Z_EN: 0
; COMPUTE_PGM_RSRC2:TIDIG_COMP_CNT: 0
	.section	.text._ZN2ck27kernel_gemm_xdl_cshuffle_v1INS_43GridwiseGemm_k0mk1_k0nk1_mn_xdl_cshuffle_v1INS_13tensor_layout4gemm8RowMajorENS3_11ColumnMajorES4_NS_9f8_fnuz_tES6_ffS6_NS_16tensor_operation12element_wise11PassThroughES9_S9_LNS7_6device18GemmSpecializationE0ELNS_25InMemoryDataOperationEnumE0ELi1ELi256ELi256ELi128ELi64ELi16ELi16ELi16ELi16ELi8ELi4ENS_8SequenceIJLi4ELi64ELi1EEEENSD_IJLi1ELi0ELi2EEEESF_Li2ELi16ELi16ELb0ELi1ESE_SF_SF_Li2ELi8ELi8ELb0ELi1ELi1ELi1ENSD_IJLi1ELi32ELi1ELi8EEEELi4ELNS_13LoopSchedulerE0ELNS_15PipelineVersionE0ES6_S6_EELb0EEEvNT_8ArgumentE,"axG",@progbits,_ZN2ck27kernel_gemm_xdl_cshuffle_v1INS_43GridwiseGemm_k0mk1_k0nk1_mn_xdl_cshuffle_v1INS_13tensor_layout4gemm8RowMajorENS3_11ColumnMajorES4_NS_9f8_fnuz_tES6_ffS6_NS_16tensor_operation12element_wise11PassThroughES9_S9_LNS7_6device18GemmSpecializationE0ELNS_25InMemoryDataOperationEnumE0ELi1ELi256ELi256ELi128ELi64ELi16ELi16ELi16ELi16ELi8ELi4ENS_8SequenceIJLi4ELi64ELi1EEEENSD_IJLi1ELi0ELi2EEEESF_Li2ELi16ELi16ELb0ELi1ESE_SF_SF_Li2ELi8ELi8ELb0ELi1ELi1ELi1ENSD_IJLi1ELi32ELi1ELi8EEEELi4ELNS_13LoopSchedulerE0ELNS_15PipelineVersionE0ES6_S6_EELb0EEEvNT_8ArgumentE,comdat
	.protected	_ZN2ck27kernel_gemm_xdl_cshuffle_v1INS_43GridwiseGemm_k0mk1_k0nk1_mn_xdl_cshuffle_v1INS_13tensor_layout4gemm8RowMajorENS3_11ColumnMajorES4_NS_9f8_fnuz_tES6_ffS6_NS_16tensor_operation12element_wise11PassThroughES9_S9_LNS7_6device18GemmSpecializationE0ELNS_25InMemoryDataOperationEnumE0ELi1ELi256ELi256ELi128ELi64ELi16ELi16ELi16ELi16ELi8ELi4ENS_8SequenceIJLi4ELi64ELi1EEEENSD_IJLi1ELi0ELi2EEEESF_Li2ELi16ELi16ELb0ELi1ESE_SF_SF_Li2ELi8ELi8ELb0ELi1ELi1ELi1ENSD_IJLi1ELi32ELi1ELi8EEEELi4ELNS_13LoopSchedulerE0ELNS_15PipelineVersionE0ES6_S6_EELb0EEEvNT_8ArgumentE ; -- Begin function _ZN2ck27kernel_gemm_xdl_cshuffle_v1INS_43GridwiseGemm_k0mk1_k0nk1_mn_xdl_cshuffle_v1INS_13tensor_layout4gemm8RowMajorENS3_11ColumnMajorES4_NS_9f8_fnuz_tES6_ffS6_NS_16tensor_operation12element_wise11PassThroughES9_S9_LNS7_6device18GemmSpecializationE0ELNS_25InMemoryDataOperationEnumE0ELi1ELi256ELi256ELi128ELi64ELi16ELi16ELi16ELi16ELi8ELi4ENS_8SequenceIJLi4ELi64ELi1EEEENSD_IJLi1ELi0ELi2EEEESF_Li2ELi16ELi16ELb0ELi1ESE_SF_SF_Li2ELi8ELi8ELb0ELi1ELi1ELi1ENSD_IJLi1ELi32ELi1ELi8EEEELi4ELNS_13LoopSchedulerE0ELNS_15PipelineVersionE0ES6_S6_EELb0EEEvNT_8ArgumentE
	.globl	_ZN2ck27kernel_gemm_xdl_cshuffle_v1INS_43GridwiseGemm_k0mk1_k0nk1_mn_xdl_cshuffle_v1INS_13tensor_layout4gemm8RowMajorENS3_11ColumnMajorES4_NS_9f8_fnuz_tES6_ffS6_NS_16tensor_operation12element_wise11PassThroughES9_S9_LNS7_6device18GemmSpecializationE0ELNS_25InMemoryDataOperationEnumE0ELi1ELi256ELi256ELi128ELi64ELi16ELi16ELi16ELi16ELi8ELi4ENS_8SequenceIJLi4ELi64ELi1EEEENSD_IJLi1ELi0ELi2EEEESF_Li2ELi16ELi16ELb0ELi1ESE_SF_SF_Li2ELi8ELi8ELb0ELi1ELi1ELi1ENSD_IJLi1ELi32ELi1ELi8EEEELi4ELNS_13LoopSchedulerE0ELNS_15PipelineVersionE0ES6_S6_EELb0EEEvNT_8ArgumentE
	.p2align	8
	.type	_ZN2ck27kernel_gemm_xdl_cshuffle_v1INS_43GridwiseGemm_k0mk1_k0nk1_mn_xdl_cshuffle_v1INS_13tensor_layout4gemm8RowMajorENS3_11ColumnMajorES4_NS_9f8_fnuz_tES6_ffS6_NS_16tensor_operation12element_wise11PassThroughES9_S9_LNS7_6device18GemmSpecializationE0ELNS_25InMemoryDataOperationEnumE0ELi1ELi256ELi256ELi128ELi64ELi16ELi16ELi16ELi16ELi8ELi4ENS_8SequenceIJLi4ELi64ELi1EEEENSD_IJLi1ELi0ELi2EEEESF_Li2ELi16ELi16ELb0ELi1ESE_SF_SF_Li2ELi8ELi8ELb0ELi1ELi1ELi1ENSD_IJLi1ELi32ELi1ELi8EEEELi4ELNS_13LoopSchedulerE0ELNS_15PipelineVersionE0ES6_S6_EELb0EEEvNT_8ArgumentE,@function
_ZN2ck27kernel_gemm_xdl_cshuffle_v1INS_43GridwiseGemm_k0mk1_k0nk1_mn_xdl_cshuffle_v1INS_13tensor_layout4gemm8RowMajorENS3_11ColumnMajorES4_NS_9f8_fnuz_tES6_ffS6_NS_16tensor_operation12element_wise11PassThroughES9_S9_LNS7_6device18GemmSpecializationE0ELNS_25InMemoryDataOperationEnumE0ELi1ELi256ELi256ELi128ELi64ELi16ELi16ELi16ELi16ELi8ELi4ENS_8SequenceIJLi4ELi64ELi1EEEENSD_IJLi1ELi0ELi2EEEESF_Li2ELi16ELi16ELb0ELi1ESE_SF_SF_Li2ELi8ELi8ELb0ELi1ELi1ELi1ENSD_IJLi1ELi32ELi1ELi8EEEELi4ELNS_13LoopSchedulerE0ELNS_15PipelineVersionE0ES6_S6_EELb0EEEvNT_8ArgumentE: ; @_ZN2ck27kernel_gemm_xdl_cshuffle_v1INS_43GridwiseGemm_k0mk1_k0nk1_mn_xdl_cshuffle_v1INS_13tensor_layout4gemm8RowMajorENS3_11ColumnMajorES4_NS_9f8_fnuz_tES6_ffS6_NS_16tensor_operation12element_wise11PassThroughES9_S9_LNS7_6device18GemmSpecializationE0ELNS_25InMemoryDataOperationEnumE0ELi1ELi256ELi256ELi128ELi64ELi16ELi16ELi16ELi16ELi8ELi4ENS_8SequenceIJLi4ELi64ELi1EEEENSD_IJLi1ELi0ELi2EEEESF_Li2ELi16ELi16ELb0ELi1ESE_SF_SF_Li2ELi8ELi8ELb0ELi1ELi1ELi1ENSD_IJLi1ELi32ELi1ELi8EEEELi4ELNS_13LoopSchedulerE0ELNS_15PipelineVersionE0ES6_S6_EELb0EEEvNT_8ArgumentE
; %bb.0:
	s_endpgm
	.section	.rodata,"a",@progbits
	.p2align	6, 0x0
	.amdhsa_kernel _ZN2ck27kernel_gemm_xdl_cshuffle_v1INS_43GridwiseGemm_k0mk1_k0nk1_mn_xdl_cshuffle_v1INS_13tensor_layout4gemm8RowMajorENS3_11ColumnMajorES4_NS_9f8_fnuz_tES6_ffS6_NS_16tensor_operation12element_wise11PassThroughES9_S9_LNS7_6device18GemmSpecializationE0ELNS_25InMemoryDataOperationEnumE0ELi1ELi256ELi256ELi128ELi64ELi16ELi16ELi16ELi16ELi8ELi4ENS_8SequenceIJLi4ELi64ELi1EEEENSD_IJLi1ELi0ELi2EEEESF_Li2ELi16ELi16ELb0ELi1ESE_SF_SF_Li2ELi8ELi8ELb0ELi1ELi1ELi1ENSD_IJLi1ELi32ELi1ELi8EEEELi4ELNS_13LoopSchedulerE0ELNS_15PipelineVersionE0ES6_S6_EELb0EEEvNT_8ArgumentE
		.amdhsa_group_segment_fixed_size 0
		.amdhsa_private_segment_fixed_size 0
		.amdhsa_kernarg_size 96
		.amdhsa_user_sgpr_count 2
		.amdhsa_user_sgpr_dispatch_ptr 0
		.amdhsa_user_sgpr_queue_ptr 0
		.amdhsa_user_sgpr_kernarg_segment_ptr 1
		.amdhsa_user_sgpr_dispatch_id 0
		.amdhsa_user_sgpr_private_segment_size 0
		.amdhsa_wavefront_size32 1
		.amdhsa_uses_dynamic_stack 0
		.amdhsa_enable_private_segment 0
		.amdhsa_system_sgpr_workgroup_id_x 1
		.amdhsa_system_sgpr_workgroup_id_y 0
		.amdhsa_system_sgpr_workgroup_id_z 0
		.amdhsa_system_sgpr_workgroup_info 0
		.amdhsa_system_vgpr_workitem_id 0
		.amdhsa_next_free_vgpr 1
		.amdhsa_next_free_sgpr 1
		.amdhsa_reserve_vcc 0
		.amdhsa_float_round_mode_32 0
		.amdhsa_float_round_mode_16_64 0
		.amdhsa_float_denorm_mode_32 3
		.amdhsa_float_denorm_mode_16_64 3
		.amdhsa_fp16_overflow 0
		.amdhsa_workgroup_processor_mode 1
		.amdhsa_memory_ordered 1
		.amdhsa_forward_progress 1
		.amdhsa_inst_pref_size 1
		.amdhsa_round_robin_scheduling 0
		.amdhsa_exception_fp_ieee_invalid_op 0
		.amdhsa_exception_fp_denorm_src 0
		.amdhsa_exception_fp_ieee_div_zero 0
		.amdhsa_exception_fp_ieee_overflow 0
		.amdhsa_exception_fp_ieee_underflow 0
		.amdhsa_exception_fp_ieee_inexact 0
		.amdhsa_exception_int_div_zero 0
	.end_amdhsa_kernel
	.section	.text._ZN2ck27kernel_gemm_xdl_cshuffle_v1INS_43GridwiseGemm_k0mk1_k0nk1_mn_xdl_cshuffle_v1INS_13tensor_layout4gemm8RowMajorENS3_11ColumnMajorES4_NS_9f8_fnuz_tES6_ffS6_NS_16tensor_operation12element_wise11PassThroughES9_S9_LNS7_6device18GemmSpecializationE0ELNS_25InMemoryDataOperationEnumE0ELi1ELi256ELi256ELi128ELi64ELi16ELi16ELi16ELi16ELi8ELi4ENS_8SequenceIJLi4ELi64ELi1EEEENSD_IJLi1ELi0ELi2EEEESF_Li2ELi16ELi16ELb0ELi1ESE_SF_SF_Li2ELi8ELi8ELb0ELi1ELi1ELi1ENSD_IJLi1ELi32ELi1ELi8EEEELi4ELNS_13LoopSchedulerE0ELNS_15PipelineVersionE0ES6_S6_EELb0EEEvNT_8ArgumentE,"axG",@progbits,_ZN2ck27kernel_gemm_xdl_cshuffle_v1INS_43GridwiseGemm_k0mk1_k0nk1_mn_xdl_cshuffle_v1INS_13tensor_layout4gemm8RowMajorENS3_11ColumnMajorES4_NS_9f8_fnuz_tES6_ffS6_NS_16tensor_operation12element_wise11PassThroughES9_S9_LNS7_6device18GemmSpecializationE0ELNS_25InMemoryDataOperationEnumE0ELi1ELi256ELi256ELi128ELi64ELi16ELi16ELi16ELi16ELi8ELi4ENS_8SequenceIJLi4ELi64ELi1EEEENSD_IJLi1ELi0ELi2EEEESF_Li2ELi16ELi16ELb0ELi1ESE_SF_SF_Li2ELi8ELi8ELb0ELi1ELi1ELi1ENSD_IJLi1ELi32ELi1ELi8EEEELi4ELNS_13LoopSchedulerE0ELNS_15PipelineVersionE0ES6_S6_EELb0EEEvNT_8ArgumentE,comdat
.Lfunc_end2:
	.size	_ZN2ck27kernel_gemm_xdl_cshuffle_v1INS_43GridwiseGemm_k0mk1_k0nk1_mn_xdl_cshuffle_v1INS_13tensor_layout4gemm8RowMajorENS3_11ColumnMajorES4_NS_9f8_fnuz_tES6_ffS6_NS_16tensor_operation12element_wise11PassThroughES9_S9_LNS7_6device18GemmSpecializationE0ELNS_25InMemoryDataOperationEnumE0ELi1ELi256ELi256ELi128ELi64ELi16ELi16ELi16ELi16ELi8ELi4ENS_8SequenceIJLi4ELi64ELi1EEEENSD_IJLi1ELi0ELi2EEEESF_Li2ELi16ELi16ELb0ELi1ESE_SF_SF_Li2ELi8ELi8ELb0ELi1ELi1ELi1ENSD_IJLi1ELi32ELi1ELi8EEEELi4ELNS_13LoopSchedulerE0ELNS_15PipelineVersionE0ES6_S6_EELb0EEEvNT_8ArgumentE, .Lfunc_end2-_ZN2ck27kernel_gemm_xdl_cshuffle_v1INS_43GridwiseGemm_k0mk1_k0nk1_mn_xdl_cshuffle_v1INS_13tensor_layout4gemm8RowMajorENS3_11ColumnMajorES4_NS_9f8_fnuz_tES6_ffS6_NS_16tensor_operation12element_wise11PassThroughES9_S9_LNS7_6device18GemmSpecializationE0ELNS_25InMemoryDataOperationEnumE0ELi1ELi256ELi256ELi128ELi64ELi16ELi16ELi16ELi16ELi8ELi4ENS_8SequenceIJLi4ELi64ELi1EEEENSD_IJLi1ELi0ELi2EEEESF_Li2ELi16ELi16ELb0ELi1ESE_SF_SF_Li2ELi8ELi8ELb0ELi1ELi1ELi1ENSD_IJLi1ELi32ELi1ELi8EEEELi4ELNS_13LoopSchedulerE0ELNS_15PipelineVersionE0ES6_S6_EELb0EEEvNT_8ArgumentE
                                        ; -- End function
	.set _ZN2ck27kernel_gemm_xdl_cshuffle_v1INS_43GridwiseGemm_k0mk1_k0nk1_mn_xdl_cshuffle_v1INS_13tensor_layout4gemm8RowMajorENS3_11ColumnMajorES4_NS_9f8_fnuz_tES6_ffS6_NS_16tensor_operation12element_wise11PassThroughES9_S9_LNS7_6device18GemmSpecializationE0ELNS_25InMemoryDataOperationEnumE0ELi1ELi256ELi256ELi128ELi64ELi16ELi16ELi16ELi16ELi8ELi4ENS_8SequenceIJLi4ELi64ELi1EEEENSD_IJLi1ELi0ELi2EEEESF_Li2ELi16ELi16ELb0ELi1ESE_SF_SF_Li2ELi8ELi8ELb0ELi1ELi1ELi1ENSD_IJLi1ELi32ELi1ELi8EEEELi4ELNS_13LoopSchedulerE0ELNS_15PipelineVersionE0ES6_S6_EELb0EEEvNT_8ArgumentE.num_vgpr, 0
	.set _ZN2ck27kernel_gemm_xdl_cshuffle_v1INS_43GridwiseGemm_k0mk1_k0nk1_mn_xdl_cshuffle_v1INS_13tensor_layout4gemm8RowMajorENS3_11ColumnMajorES4_NS_9f8_fnuz_tES6_ffS6_NS_16tensor_operation12element_wise11PassThroughES9_S9_LNS7_6device18GemmSpecializationE0ELNS_25InMemoryDataOperationEnumE0ELi1ELi256ELi256ELi128ELi64ELi16ELi16ELi16ELi16ELi8ELi4ENS_8SequenceIJLi4ELi64ELi1EEEENSD_IJLi1ELi0ELi2EEEESF_Li2ELi16ELi16ELb0ELi1ESE_SF_SF_Li2ELi8ELi8ELb0ELi1ELi1ELi1ENSD_IJLi1ELi32ELi1ELi8EEEELi4ELNS_13LoopSchedulerE0ELNS_15PipelineVersionE0ES6_S6_EELb0EEEvNT_8ArgumentE.num_agpr, 0
	.set _ZN2ck27kernel_gemm_xdl_cshuffle_v1INS_43GridwiseGemm_k0mk1_k0nk1_mn_xdl_cshuffle_v1INS_13tensor_layout4gemm8RowMajorENS3_11ColumnMajorES4_NS_9f8_fnuz_tES6_ffS6_NS_16tensor_operation12element_wise11PassThroughES9_S9_LNS7_6device18GemmSpecializationE0ELNS_25InMemoryDataOperationEnumE0ELi1ELi256ELi256ELi128ELi64ELi16ELi16ELi16ELi16ELi8ELi4ENS_8SequenceIJLi4ELi64ELi1EEEENSD_IJLi1ELi0ELi2EEEESF_Li2ELi16ELi16ELb0ELi1ESE_SF_SF_Li2ELi8ELi8ELb0ELi1ELi1ELi1ENSD_IJLi1ELi32ELi1ELi8EEEELi4ELNS_13LoopSchedulerE0ELNS_15PipelineVersionE0ES6_S6_EELb0EEEvNT_8ArgumentE.numbered_sgpr, 0
	.set _ZN2ck27kernel_gemm_xdl_cshuffle_v1INS_43GridwiseGemm_k0mk1_k0nk1_mn_xdl_cshuffle_v1INS_13tensor_layout4gemm8RowMajorENS3_11ColumnMajorES4_NS_9f8_fnuz_tES6_ffS6_NS_16tensor_operation12element_wise11PassThroughES9_S9_LNS7_6device18GemmSpecializationE0ELNS_25InMemoryDataOperationEnumE0ELi1ELi256ELi256ELi128ELi64ELi16ELi16ELi16ELi16ELi8ELi4ENS_8SequenceIJLi4ELi64ELi1EEEENSD_IJLi1ELi0ELi2EEEESF_Li2ELi16ELi16ELb0ELi1ESE_SF_SF_Li2ELi8ELi8ELb0ELi1ELi1ELi1ENSD_IJLi1ELi32ELi1ELi8EEEELi4ELNS_13LoopSchedulerE0ELNS_15PipelineVersionE0ES6_S6_EELb0EEEvNT_8ArgumentE.num_named_barrier, 0
	.set _ZN2ck27kernel_gemm_xdl_cshuffle_v1INS_43GridwiseGemm_k0mk1_k0nk1_mn_xdl_cshuffle_v1INS_13tensor_layout4gemm8RowMajorENS3_11ColumnMajorES4_NS_9f8_fnuz_tES6_ffS6_NS_16tensor_operation12element_wise11PassThroughES9_S9_LNS7_6device18GemmSpecializationE0ELNS_25InMemoryDataOperationEnumE0ELi1ELi256ELi256ELi128ELi64ELi16ELi16ELi16ELi16ELi8ELi4ENS_8SequenceIJLi4ELi64ELi1EEEENSD_IJLi1ELi0ELi2EEEESF_Li2ELi16ELi16ELb0ELi1ESE_SF_SF_Li2ELi8ELi8ELb0ELi1ELi1ELi1ENSD_IJLi1ELi32ELi1ELi8EEEELi4ELNS_13LoopSchedulerE0ELNS_15PipelineVersionE0ES6_S6_EELb0EEEvNT_8ArgumentE.private_seg_size, 0
	.set _ZN2ck27kernel_gemm_xdl_cshuffle_v1INS_43GridwiseGemm_k0mk1_k0nk1_mn_xdl_cshuffle_v1INS_13tensor_layout4gemm8RowMajorENS3_11ColumnMajorES4_NS_9f8_fnuz_tES6_ffS6_NS_16tensor_operation12element_wise11PassThroughES9_S9_LNS7_6device18GemmSpecializationE0ELNS_25InMemoryDataOperationEnumE0ELi1ELi256ELi256ELi128ELi64ELi16ELi16ELi16ELi16ELi8ELi4ENS_8SequenceIJLi4ELi64ELi1EEEENSD_IJLi1ELi0ELi2EEEESF_Li2ELi16ELi16ELb0ELi1ESE_SF_SF_Li2ELi8ELi8ELb0ELi1ELi1ELi1ENSD_IJLi1ELi32ELi1ELi8EEEELi4ELNS_13LoopSchedulerE0ELNS_15PipelineVersionE0ES6_S6_EELb0EEEvNT_8ArgumentE.uses_vcc, 0
	.set _ZN2ck27kernel_gemm_xdl_cshuffle_v1INS_43GridwiseGemm_k0mk1_k0nk1_mn_xdl_cshuffle_v1INS_13tensor_layout4gemm8RowMajorENS3_11ColumnMajorES4_NS_9f8_fnuz_tES6_ffS6_NS_16tensor_operation12element_wise11PassThroughES9_S9_LNS7_6device18GemmSpecializationE0ELNS_25InMemoryDataOperationEnumE0ELi1ELi256ELi256ELi128ELi64ELi16ELi16ELi16ELi16ELi8ELi4ENS_8SequenceIJLi4ELi64ELi1EEEENSD_IJLi1ELi0ELi2EEEESF_Li2ELi16ELi16ELb0ELi1ESE_SF_SF_Li2ELi8ELi8ELb0ELi1ELi1ELi1ENSD_IJLi1ELi32ELi1ELi8EEEELi4ELNS_13LoopSchedulerE0ELNS_15PipelineVersionE0ES6_S6_EELb0EEEvNT_8ArgumentE.uses_flat_scratch, 0
	.set _ZN2ck27kernel_gemm_xdl_cshuffle_v1INS_43GridwiseGemm_k0mk1_k0nk1_mn_xdl_cshuffle_v1INS_13tensor_layout4gemm8RowMajorENS3_11ColumnMajorES4_NS_9f8_fnuz_tES6_ffS6_NS_16tensor_operation12element_wise11PassThroughES9_S9_LNS7_6device18GemmSpecializationE0ELNS_25InMemoryDataOperationEnumE0ELi1ELi256ELi256ELi128ELi64ELi16ELi16ELi16ELi16ELi8ELi4ENS_8SequenceIJLi4ELi64ELi1EEEENSD_IJLi1ELi0ELi2EEEESF_Li2ELi16ELi16ELb0ELi1ESE_SF_SF_Li2ELi8ELi8ELb0ELi1ELi1ELi1ENSD_IJLi1ELi32ELi1ELi8EEEELi4ELNS_13LoopSchedulerE0ELNS_15PipelineVersionE0ES6_S6_EELb0EEEvNT_8ArgumentE.has_dyn_sized_stack, 0
	.set _ZN2ck27kernel_gemm_xdl_cshuffle_v1INS_43GridwiseGemm_k0mk1_k0nk1_mn_xdl_cshuffle_v1INS_13tensor_layout4gemm8RowMajorENS3_11ColumnMajorES4_NS_9f8_fnuz_tES6_ffS6_NS_16tensor_operation12element_wise11PassThroughES9_S9_LNS7_6device18GemmSpecializationE0ELNS_25InMemoryDataOperationEnumE0ELi1ELi256ELi256ELi128ELi64ELi16ELi16ELi16ELi16ELi8ELi4ENS_8SequenceIJLi4ELi64ELi1EEEENSD_IJLi1ELi0ELi2EEEESF_Li2ELi16ELi16ELb0ELi1ESE_SF_SF_Li2ELi8ELi8ELb0ELi1ELi1ELi1ENSD_IJLi1ELi32ELi1ELi8EEEELi4ELNS_13LoopSchedulerE0ELNS_15PipelineVersionE0ES6_S6_EELb0EEEvNT_8ArgumentE.has_recursion, 0
	.set _ZN2ck27kernel_gemm_xdl_cshuffle_v1INS_43GridwiseGemm_k0mk1_k0nk1_mn_xdl_cshuffle_v1INS_13tensor_layout4gemm8RowMajorENS3_11ColumnMajorES4_NS_9f8_fnuz_tES6_ffS6_NS_16tensor_operation12element_wise11PassThroughES9_S9_LNS7_6device18GemmSpecializationE0ELNS_25InMemoryDataOperationEnumE0ELi1ELi256ELi256ELi128ELi64ELi16ELi16ELi16ELi16ELi8ELi4ENS_8SequenceIJLi4ELi64ELi1EEEENSD_IJLi1ELi0ELi2EEEESF_Li2ELi16ELi16ELb0ELi1ESE_SF_SF_Li2ELi8ELi8ELb0ELi1ELi1ELi1ENSD_IJLi1ELi32ELi1ELi8EEEELi4ELNS_13LoopSchedulerE0ELNS_15PipelineVersionE0ES6_S6_EELb0EEEvNT_8ArgumentE.has_indirect_call, 0
	.section	.AMDGPU.csdata,"",@progbits
; Kernel info:
; codeLenInByte = 4
; TotalNumSgprs: 0
; NumVgprs: 0
; ScratchSize: 0
; MemoryBound: 0
; FloatMode: 240
; IeeeMode: 1
; LDSByteSize: 0 bytes/workgroup (compile time only)
; SGPRBlocks: 0
; VGPRBlocks: 0
; NumSGPRsForWavesPerEU: 1
; NumVGPRsForWavesPerEU: 1
; Occupancy: 16
; WaveLimiterHint : 0
; COMPUTE_PGM_RSRC2:SCRATCH_EN: 0
; COMPUTE_PGM_RSRC2:USER_SGPR: 2
; COMPUTE_PGM_RSRC2:TRAP_HANDLER: 0
; COMPUTE_PGM_RSRC2:TGID_X_EN: 1
; COMPUTE_PGM_RSRC2:TGID_Y_EN: 0
; COMPUTE_PGM_RSRC2:TGID_Z_EN: 0
; COMPUTE_PGM_RSRC2:TIDIG_COMP_CNT: 0
	.section	.text._ZN2ck27kernel_gemm_xdl_cshuffle_v1INS_43GridwiseGemm_k0mk1_k0nk1_mn_xdl_cshuffle_v1INS_13tensor_layout4gemm8RowMajorENS3_11ColumnMajorES4_NS_9f8_fnuz_tES6_ffS6_NS_16tensor_operation12element_wise11PassThroughES9_S9_LNS7_6device18GemmSpecializationE0ELNS_25InMemoryDataOperationEnumE0ELi1ELi256ELi256ELi128ELi64ELi16ELi16ELi16ELi16ELi8ELi2ENS_8SequenceIJLi4ELi64ELi1EEEENSD_IJLi1ELi0ELi2EEEESF_Li2ELi16ELi16ELb0ELi1ESE_SF_SF_Li2ELi8ELi8ELb0ELi1ELi1ELi1ENSD_IJLi1ELi32ELi1ELi8EEEELi4ELNS_13LoopSchedulerE0ELNS_15PipelineVersionE0ES6_S6_EELb1EEEvNT_8ArgumentE,"axG",@progbits,_ZN2ck27kernel_gemm_xdl_cshuffle_v1INS_43GridwiseGemm_k0mk1_k0nk1_mn_xdl_cshuffle_v1INS_13tensor_layout4gemm8RowMajorENS3_11ColumnMajorES4_NS_9f8_fnuz_tES6_ffS6_NS_16tensor_operation12element_wise11PassThroughES9_S9_LNS7_6device18GemmSpecializationE0ELNS_25InMemoryDataOperationEnumE0ELi1ELi256ELi256ELi128ELi64ELi16ELi16ELi16ELi16ELi8ELi2ENS_8SequenceIJLi4ELi64ELi1EEEENSD_IJLi1ELi0ELi2EEEESF_Li2ELi16ELi16ELb0ELi1ESE_SF_SF_Li2ELi8ELi8ELb0ELi1ELi1ELi1ENSD_IJLi1ELi32ELi1ELi8EEEELi4ELNS_13LoopSchedulerE0ELNS_15PipelineVersionE0ES6_S6_EELb1EEEvNT_8ArgumentE,comdat
	.protected	_ZN2ck27kernel_gemm_xdl_cshuffle_v1INS_43GridwiseGemm_k0mk1_k0nk1_mn_xdl_cshuffle_v1INS_13tensor_layout4gemm8RowMajorENS3_11ColumnMajorES4_NS_9f8_fnuz_tES6_ffS6_NS_16tensor_operation12element_wise11PassThroughES9_S9_LNS7_6device18GemmSpecializationE0ELNS_25InMemoryDataOperationEnumE0ELi1ELi256ELi256ELi128ELi64ELi16ELi16ELi16ELi16ELi8ELi2ENS_8SequenceIJLi4ELi64ELi1EEEENSD_IJLi1ELi0ELi2EEEESF_Li2ELi16ELi16ELb0ELi1ESE_SF_SF_Li2ELi8ELi8ELb0ELi1ELi1ELi1ENSD_IJLi1ELi32ELi1ELi8EEEELi4ELNS_13LoopSchedulerE0ELNS_15PipelineVersionE0ES6_S6_EELb1EEEvNT_8ArgumentE ; -- Begin function _ZN2ck27kernel_gemm_xdl_cshuffle_v1INS_43GridwiseGemm_k0mk1_k0nk1_mn_xdl_cshuffle_v1INS_13tensor_layout4gemm8RowMajorENS3_11ColumnMajorES4_NS_9f8_fnuz_tES6_ffS6_NS_16tensor_operation12element_wise11PassThroughES9_S9_LNS7_6device18GemmSpecializationE0ELNS_25InMemoryDataOperationEnumE0ELi1ELi256ELi256ELi128ELi64ELi16ELi16ELi16ELi16ELi8ELi2ENS_8SequenceIJLi4ELi64ELi1EEEENSD_IJLi1ELi0ELi2EEEESF_Li2ELi16ELi16ELb0ELi1ESE_SF_SF_Li2ELi8ELi8ELb0ELi1ELi1ELi1ENSD_IJLi1ELi32ELi1ELi8EEEELi4ELNS_13LoopSchedulerE0ELNS_15PipelineVersionE0ES6_S6_EELb1EEEvNT_8ArgumentE
	.globl	_ZN2ck27kernel_gemm_xdl_cshuffle_v1INS_43GridwiseGemm_k0mk1_k0nk1_mn_xdl_cshuffle_v1INS_13tensor_layout4gemm8RowMajorENS3_11ColumnMajorES4_NS_9f8_fnuz_tES6_ffS6_NS_16tensor_operation12element_wise11PassThroughES9_S9_LNS7_6device18GemmSpecializationE0ELNS_25InMemoryDataOperationEnumE0ELi1ELi256ELi256ELi128ELi64ELi16ELi16ELi16ELi16ELi8ELi2ENS_8SequenceIJLi4ELi64ELi1EEEENSD_IJLi1ELi0ELi2EEEESF_Li2ELi16ELi16ELb0ELi1ESE_SF_SF_Li2ELi8ELi8ELb0ELi1ELi1ELi1ENSD_IJLi1ELi32ELi1ELi8EEEELi4ELNS_13LoopSchedulerE0ELNS_15PipelineVersionE0ES6_S6_EELb1EEEvNT_8ArgumentE
	.p2align	8
	.type	_ZN2ck27kernel_gemm_xdl_cshuffle_v1INS_43GridwiseGemm_k0mk1_k0nk1_mn_xdl_cshuffle_v1INS_13tensor_layout4gemm8RowMajorENS3_11ColumnMajorES4_NS_9f8_fnuz_tES6_ffS6_NS_16tensor_operation12element_wise11PassThroughES9_S9_LNS7_6device18GemmSpecializationE0ELNS_25InMemoryDataOperationEnumE0ELi1ELi256ELi256ELi128ELi64ELi16ELi16ELi16ELi16ELi8ELi2ENS_8SequenceIJLi4ELi64ELi1EEEENSD_IJLi1ELi0ELi2EEEESF_Li2ELi16ELi16ELb0ELi1ESE_SF_SF_Li2ELi8ELi8ELb0ELi1ELi1ELi1ENSD_IJLi1ELi32ELi1ELi8EEEELi4ELNS_13LoopSchedulerE0ELNS_15PipelineVersionE0ES6_S6_EELb1EEEvNT_8ArgumentE,@function
_ZN2ck27kernel_gemm_xdl_cshuffle_v1INS_43GridwiseGemm_k0mk1_k0nk1_mn_xdl_cshuffle_v1INS_13tensor_layout4gemm8RowMajorENS3_11ColumnMajorES4_NS_9f8_fnuz_tES6_ffS6_NS_16tensor_operation12element_wise11PassThroughES9_S9_LNS7_6device18GemmSpecializationE0ELNS_25InMemoryDataOperationEnumE0ELi1ELi256ELi256ELi128ELi64ELi16ELi16ELi16ELi16ELi8ELi2ENS_8SequenceIJLi4ELi64ELi1EEEENSD_IJLi1ELi0ELi2EEEESF_Li2ELi16ELi16ELb0ELi1ESE_SF_SF_Li2ELi8ELi8ELb0ELi1ELi1ELi1ENSD_IJLi1ELi32ELi1ELi8EEEELi4ELNS_13LoopSchedulerE0ELNS_15PipelineVersionE0ES6_S6_EELb1EEEvNT_8ArgumentE: ; @_ZN2ck27kernel_gemm_xdl_cshuffle_v1INS_43GridwiseGemm_k0mk1_k0nk1_mn_xdl_cshuffle_v1INS_13tensor_layout4gemm8RowMajorENS3_11ColumnMajorES4_NS_9f8_fnuz_tES6_ffS6_NS_16tensor_operation12element_wise11PassThroughES9_S9_LNS7_6device18GemmSpecializationE0ELNS_25InMemoryDataOperationEnumE0ELi1ELi256ELi256ELi128ELi64ELi16ELi16ELi16ELi16ELi8ELi2ENS_8SequenceIJLi4ELi64ELi1EEEENSD_IJLi1ELi0ELi2EEEESF_Li2ELi16ELi16ELb0ELi1ESE_SF_SF_Li2ELi8ELi8ELb0ELi1ELi1ELi1ENSD_IJLi1ELi32ELi1ELi8EEEELi4ELNS_13LoopSchedulerE0ELNS_15PipelineVersionE0ES6_S6_EELb1EEEvNT_8ArgumentE
; %bb.0:
	s_clause 0x1
	s_load_b128 s[8:11], s[0:1], 0x10
	s_load_b64 s[20:21], s[0:1], 0x20
	s_abs_i32 s7, ttmp9
	v_lshrrev_b32_e32 v132, 1, v0
	v_dual_mov_b32 v8, 0 :: v_dual_and_b32 v129, 0xfc, v0
	v_and_b32_e32 v130, 3, v0
	s_mov_b32 s29, 0
	s_delay_alu instid0(VALU_DEP_3)
	v_and_b32_e32 v128, 0x7e, v132
	s_mov_b32 s22, s29
	v_mov_b32_e32 v9, v8
	v_mov_b32_e32 v11, v8
	v_dual_mov_b32 v10, v8 :: v_dual_lshlrev_b32 v133, 4, v130
	s_mov_b32 s16, s29
	v_and_b32_e32 v134, 15, v0
	v_lshrrev_b32_e32 v210, 3, v0
	v_lshlrev_b32_e32 v135, 3, v0
	v_mul_u32_u24_e32 v167, 0x810, v130
	v_mov_b32_e32 v126, v8
	s_wait_kmcnt 0x0
	s_add_co_i32 s2, s8, 0xff
	s_add_co_i32 s3, s9, 0x7f
	s_ashr_i32 s4, s2, 31
	s_ashr_i32 s5, s3, 31
	s_lshr_b32 s4, s4, 24
	s_lshr_b32 s5, s5, 25
	s_add_co_i32 s2, s2, s4
	s_add_co_i32 s3, s3, s5
	s_ashr_i32 s2, s2, 8
	s_ashr_i32 s3, s3, 7
	s_add_co_i32 s23, s8, -1
	s_mul_i32 s4, s3, s2
	s_add_co_i32 s13, s9, -1
	s_abs_i32 s4, s4
	s_mov_b32 s28, s11
	s_cvt_f32_u32 s5, s4
	s_sub_co_i32 s6, 0, s4
	s_mul_u64 s[26:27], s[22:23], s[28:29]
	s_mov_b32 s28, s20
	v_rcp_iflag_f32_e32 v1, s5
	s_mov_b32 s17, s10
	v_and_b32_e32 v138, 2, v210
	s_add_nc_u64 s[26:27], s[26:27], s[16:17]
	v_mul_u32_u24_e32 v137, 0x1010, v130
	s_mov_b32 s18, s27
	v_or3_b32 v136, 0, 0, 0
	v_mul_u32_u24_e32 v168, 0x1010, v138
	v_mul_u32_u24_e32 v138, 0x810, v138
	v_dual_mov_b32 v16, v8 :: v_dual_mov_b32 v19, v8
	v_readfirstlane_b32 s5, v1
	v_dual_mov_b32 v18, v8 :: v_dual_mov_b32 v21, v8
	v_dual_mov_b32 v20, v8 :: v_dual_mov_b32 v23, v8
	s_mul_f32 s5, s5, 0x4f7ffffe
	v_dual_mov_b32 v22, v8 :: v_dual_mov_b32 v25, v8
	v_dual_mov_b32 v24, v8 :: v_dual_mov_b32 v27, v8
	s_wait_alu 0xfffe
	s_cvt_u32_f32 s5, s5
	v_dual_mov_b32 v26, v8 :: v_dual_mov_b32 v29, v8
	v_dual_mov_b32 v28, v8 :: v_dual_mov_b32 v31, v8
	s_wait_alu 0xfffe
	s_mul_i32 s6, s6, s5
	v_dual_mov_b32 v30, v8 :: v_dual_mov_b32 v41, v8
	s_mul_hi_u32 s6, s5, s6
	v_dual_mov_b32 v40, v8 :: v_dual_mov_b32 v43, v8
	s_add_co_i32 s5, s5, s6
	s_ashr_i32 s6, ttmp9, 31
	s_wait_alu 0xfffe
	s_mul_hi_u32 s5, s7, s5
	v_dual_mov_b32 v42, v8 :: v_dual_mov_b32 v45, v8
	s_wait_alu 0xfffe
	s_mul_i32 s5, s5, s4
	v_dual_mov_b32 v44, v8 :: v_dual_mov_b32 v47, v8
	s_wait_alu 0xfffe
	s_sub_co_i32 s5, s7, s5
	v_dual_mov_b32 v46, v8 :: v_dual_mov_b32 v33, v8
	s_wait_alu 0xfffe
	s_sub_co_i32 s7, s5, s4
	s_cmp_ge_u32 s5, s4
	v_dual_mov_b32 v32, v8 :: v_dual_mov_b32 v35, v8
	s_cselect_b32 s5, s7, s5
	v_dual_mov_b32 v34, v8 :: v_dual_mov_b32 v37, v8
	s_wait_alu 0xfffe
	s_sub_co_i32 s7, s5, s4
	s_cmp_ge_u32 s5, s4
	v_dual_mov_b32 v36, v8 :: v_dual_mov_b32 v39, v8
	s_cselect_b32 s4, s7, s5
	s_abs_i32 s5, s3
	s_wait_alu 0xfffe
	s_xor_b32 s4, s4, s6
	s_cvt_f32_u32 s7, s5
	s_sub_co_i32 s8, 0, s5
	s_wait_alu 0xfffe
	s_sub_co_i32 s4, s4, s6
	v_dual_mov_b32 v38, v8 :: v_dual_mov_b32 v49, v8
	v_rcp_iflag_f32_e32 v1, s7
	v_dual_mov_b32 v48, v8 :: v_dual_mov_b32 v51, v8
	v_dual_mov_b32 v50, v8 :: v_dual_mov_b32 v53, v8
	;; [unrolled: 1-line block ×5, first 2 shown]
	s_delay_alu instid0(TRANS32_DEP_1)
	v_readfirstlane_b32 s7, v1
	v_dual_mov_b32 v58, v8 :: v_dual_mov_b32 v61, v8
	v_dual_mov_b32 v60, v8 :: v_dual_mov_b32 v63, v8
	s_mul_f32 s7, s7, 0x4f7ffffe
	v_dual_mov_b32 v62, v8 :: v_dual_mov_b32 v73, v8
	v_dual_mov_b32 v72, v8 :: v_dual_mov_b32 v75, v8
	s_wait_alu 0xfffe
	s_cvt_u32_f32 s7, s7
	v_dual_mov_b32 v74, v8 :: v_dual_mov_b32 v77, v8
	v_dual_mov_b32 v76, v8 :: v_dual_mov_b32 v79, v8
	s_wait_alu 0xfffe
	s_mul_i32 s8, s8, s7
	v_dual_mov_b32 v78, v8 :: v_dual_mov_b32 v65, v8
	s_mul_hi_u32 s6, s7, s8
	s_abs_i32 s8, s4
	s_wait_alu 0xfffe
	s_add_co_i32 s7, s7, s6
	v_dual_mov_b32 v64, v8 :: v_dual_mov_b32 v67, v8
	s_wait_alu 0xfffe
	s_mul_hi_u32 s6, s8, s7
	s_xor_b32 s7, s4, s3
	s_wait_alu 0xfffe
	s_mul_i32 s12, s6, s5
	s_ashr_i32 s7, s7, 31
	s_sub_co_i32 s8, s8, s12
	s_add_co_i32 s12, s6, 1
	s_sub_co_i32 s14, s8, s5
	s_cmp_ge_u32 s8, s5
	v_dual_mov_b32 v66, v8 :: v_dual_mov_b32 v69, v8
	s_cselect_b32 s6, s12, s6
	s_cselect_b32 s8, s14, s8
	s_wait_alu 0xfffe
	s_add_co_i32 s12, s6, 1
	s_cmp_ge_u32 s8, s5
	v_dual_mov_b32 v68, v8 :: v_dual_mov_b32 v71, v8
	s_cselect_b32 s5, s12, s6
	s_lshr_b32 s6, s2, 29
	s_wait_alu 0xfffe
	s_xor_b32 s5, s5, s7
	s_add_co_i32 s6, s2, s6
	s_wait_alu 0xfffe
	s_sub_co_i32 s5, s5, s7
	s_and_b32 s6, s6, -8
	s_wait_alu 0xfffe
	s_mul_i32 s12, s5, s3
	s_sub_co_i32 s2, s2, s6
	s_cmp_ge_i32 s5, s6
	v_dual_mov_b32 v70, v8 :: v_dual_mov_b32 v81, v8
	s_cselect_b32 s2, s2, 8
	s_ashr_i32 s8, s5, 31
	s_abs_i32 s6, s2
	s_lshr_b32 s8, s8, 29
	s_wait_alu 0xfffe
	s_cvt_f32_u32 s7, s6
	s_add_co_i32 s8, s5, s8
	s_sub_co_i32 s4, s4, s12
	s_and_b32 s31, s8, -8
	s_wait_alu 0xfffe
	v_rcp_iflag_f32_e32 v1, s7
	s_sub_co_i32 s5, s5, s31
	s_sub_co_i32 s8, 0, s6
	s_wait_alu 0xfffe
	s_mul_i32 s3, s5, s3
	v_dual_mov_b32 v80, v8 :: v_dual_mov_b32 v83, v8
	s_add_co_i32 s12, s3, s4
	v_dual_mov_b32 v82, v8 :: v_dual_mov_b32 v85, v8
	s_abs_i32 s4, s12
	s_delay_alu instid0(TRANS32_DEP_1)
	v_readfirstlane_b32 s7, v1
	s_xor_b32 s5, s12, s2
	v_dual_mov_b32 v84, v8 :: v_dual_mov_b32 v87, v8
	v_dual_mov_b32 v86, v8 :: v_dual_mov_b32 v89, v8
	s_mul_f32 s7, s7, 0x4f7ffffe
	v_dual_mov_b32 v88, v8 :: v_dual_mov_b32 v91, v8
	v_dual_mov_b32 v90, v8 :: v_dual_mov_b32 v93, v8
	s_wait_alu 0xfffe
	s_cvt_u32_f32 s7, s7
	s_load_b32 s10, s[0:1], 0x34
	v_dual_mov_b32 v92, v8 :: v_dual_mov_b32 v95, v8
	s_delay_alu instid0(SALU_CYCLE_1)
	s_mul_i32 s8, s8, s7
	v_dual_mov_b32 v94, v8 :: v_dual_mov_b32 v105, v8
	s_mul_hi_u32 s3, s7, s8
	s_ashr_i32 s8, s5, 31
	s_add_co_i32 s7, s7, s3
	v_dual_mov_b32 v104, v8 :: v_dual_mov_b32 v107, v8
	s_wait_alu 0xfffe
	s_mul_hi_u32 s3, s4, s7
	v_dual_mov_b32 v106, v8 :: v_dual_mov_b32 v109, v8
	s_mul_i32 s7, s3, s6
	s_add_co_i32 s5, s3, 1
	s_wait_alu 0xfffe
	s_sub_co_i32 s4, s4, s7
	v_mov_b32_e32 v12, v8
	s_wait_alu 0xfffe
	s_sub_co_i32 s7, s4, s6
	s_cmp_ge_u32 s4, s6
	v_dual_mov_b32 v108, v8 :: v_dual_mov_b32 v111, v8
	s_cselect_b32 s5, s5, s3
	s_wait_alu 0xfffe
	s_cselect_b32 s3, s7, s4
	s_add_co_i32 s4, s5, 1
	s_cmp_ge_u32 s3, s6
	v_mov_b32_e32 v13, v8
	s_wait_alu 0xfffe
	s_cselect_b32 s4, s4, s5
	s_mov_b32 s3, 0x31004000
	s_wait_alu 0xfffe
	s_xor_b32 s14, s4, s8
	s_load_b128 s[4:7], s[0:1], 0x48
	s_sub_co_i32 s30, s14, s8
	s_mov_b32 s15, s3
	v_lshl_or_b32 v1, s30, 7, v128
	s_mul_i32 s2, s30, s2
	v_mov_b32_e32 v15, v8
	s_sub_co_i32 s2, s12, s2
	s_mov_b32 s12, s29
	v_mul_lo_u32 v131, v1, s20
	s_add_co_i32 s31, s31, s2
	s_mul_u64 s[12:13], s[12:13], s[28:29]
	s_wait_alu 0xfffe
	v_lshl_or_b32 v139, s31, 8, v129
	s_add_nc_u64 s[24:25], s[12:13], s[16:17]
	v_mov_b32_e32 v14, v8
	s_mov_b32 s14, s25
	v_dual_mov_b32 v0, v8 :: v_dual_add_nc_u32 v1, v131, v133
	v_mul_lo_u32 v141, v139, s11
	s_mov_b32 s19, s3
	v_lshlrev_b32_e32 v128, 4, v128
	s_wait_kmcnt 0x0
	s_mov_b32 s12, s6
	v_add_nc_u32_e32 v2, s20, v1
	s_and_b32 s13, s7, 0xffff
	s_mov_b32 s16, s4
	s_and_b32 s17, s5, 0xffff
	v_add_nc_u32_e32 v3, v141, v133
	v_add_nc_u32_e32 v4, 8, v2
	v_lshlrev_b32_e32 v129, 4, v129
	v_mad_u32_u24 v170, 0x810, v130, v128
	v_mov_b32_e32 v7, v8
	v_add_nc_u32_e32 v5, s11, v3
	buffer_load_b64 v[162:163], v4, s[12:15], null offen
	v_mad_u32_u24 v169, 0x1010, v130, v129
	v_or_b32_e32 v130, 2, v139
	v_add_nc_u32_e32 v137, v137, v129
	v_dual_mov_b32 v17, v8 :: v_dual_add_nc_u32 v4, s11, v5
	v_dual_mov_b32 v110, v8 :: v_dual_mov_b32 v97, v8
	v_dual_mov_b32 v96, v8 :: v_dual_mov_b32 v99, v8
	s_delay_alu instid0(VALU_DEP_3)
	v_add_nc_u32_e32 v6, s11, v4
	s_clause 0x3
	buffer_load_b128 v[142:145], v3, s[16:19], null offen
	buffer_load_b128 v[146:149], v5, s[16:19], null offen
	;; [unrolled: 1-line block ×4, first 2 shown]
	s_clause 0x1
	buffer_load_b128 v[158:161], v1, s[12:15], null offen
	buffer_load_b64 v[164:165], v2, s[12:15], null offen
	v_dual_mov_b32 v5, v8 :: v_dual_lshlrev_b32 v166, 4, v134
	v_mov_b32_e32 v2, v8
	v_and_or_b32 v140, v210, 16, v134
	s_load_b64 s[14:15], s[0:1], 0x58
	s_ashr_i32 s1, s10, 31
	v_and_or_b32 v166, 0x300, v135, v166
	s_lshr_b32 s1, s1, 30
	v_lshl_add_u32 v208, v140, 4, v168
	s_add_co_i32 s10, s10, s1
	s_delay_alu instid0(VALU_DEP_2)
	v_dual_mov_b32 v1, v8 :: v_dual_add_nc_u32 v140, v166, v138
	v_add_nc_u32_e32 v138, v128, v167
	v_or_b32_e32 v128, 3, v139
	s_wait_alu 0xfffe
	s_ashr_i32 s5, s10, 2
	v_dual_mov_b32 v3, v8 :: v_dual_mov_b32 v4, v8
	v_mov_b32_e32 v6, v8
	v_mad_co_u64_u32 v[128:129], null, s11, v128, 64
	v_mad_co_u64_u32 v[129:130], null, s11, v130, 64
	v_add_nc_u32_e32 v130, 64, v141
	v_dual_mov_b32 v98, v8 :: v_dual_mov_b32 v101, v8
	v_dual_mov_b32 v100, v8 :: v_dual_mov_b32 v103, v8
	;; [unrolled: 1-line block ×10, first 2 shown]
	v_add_nc_u32_e32 v166, 0x4000, v170
	v_add_nc_u32_e32 v139, s20, v131
	;; [unrolled: 1-line block ×3, first 2 shown]
	s_wait_alu 0xfffe
	s_max_i32 s10, s5, 2
	s_mov_b32 s8, s29
	s_mov_b32 s7, s3
	;; [unrolled: 1-line block ×8, first 2 shown]
	s_wait_alu 0xfffe
	s_add_co_i32 s10, s10, -1
	s_wait_loadcnt 0x5
	ds_store_b128 v169, v[142:145]
	s_wait_loadcnt 0x4
	ds_store_b128 v169, v[146:149] offset:16
	v_and_b32_e32 v167, 0xffff0000, v163
	v_and_b32_e32 v168, 0xff, v163
	v_and_b32_e32 v171, 0xff0000, v162
	v_and_b32_e32 v172, 0xff000000, v162
	v_and_b32_e32 v163, 0xff00, v163
	v_and_b32_e32 v173, 0xff00, v162
	v_and_b32_e32 v162, 0xff, v162
	v_add_nc_u32_e32 v142, 0x4000, v138
	v_or3_b32 v171, v136, v172, v171
	v_or3_b32 v163, v163, v167, v168
	s_wait_loadcnt 0x3
	ds_store_b128 v169, v[150:153] offset:32
	s_wait_loadcnt 0x2
	ds_store_b128 v169, v[154:157] offset:48
	;; [unrolled: 2-line block ×3, first 2 shown]
	v_or3_b32 v143, v171, v173, v162
	v_or3_b32 v144, v163, 0, 0
	s_wait_loadcnt 0x0
	ds_store_2addr_b64 v166, v[164:165], v[143:144] offset0:8 offset1:9
.LBB3_1:                                ; =>This Inner Loop Header: Depth=1
	v_add_nc_u32_e32 v143, v133, v130
	v_add_nc_u32_e32 v159, v133, v139
	v_add_nc_u32_e32 v147, v133, v141
	v_add_nc_u32_e32 v151, v133, v129
	v_add_nc_u32_e32 v155, v133, v128
	s_clause 0x3
	buffer_load_b128 v[143:146], v143, s[0:3], null offen
	buffer_load_b128 v[147:150], v147, s[0:3], null offen
	;; [unrolled: 1-line block ×4, first 2 shown]
	s_wait_dscnt 0x0
	s_barrier_signal -1
	s_barrier_wait -1
	buffer_load_b128 v[159:162], v159, s[4:7], null offen offset:64
	v_add_nc_u32_e32 v163, v133, v131
	v_add_nc_u32_e32 v139, 64, v139
	v_add_nc_u32_e32 v131, 64, v131
	v_add_nc_u32_e32 v128, 64, v128
	v_add_nc_u32_e32 v129, 64, v129
	buffer_load_b128 v[163:166], v163, s[4:7], null offen offset:64
	ds_load_b128 v[167:170], v208
	ds_load_b128 v[171:174], v140 offset:16432
	ds_load_b128 v[175:178], v140 offset:17456
	;; [unrolled: 1-line block ×10, first 2 shown]
	v_add_nc_u32_e32 v141, 64, v141
	v_add_nc_u32_e32 v130, 64, v130
	s_add_co_i32 s10, s10, -1
	s_wait_alu 0xfffe
	s_cmp_lg_u32 s10, 0
	s_wait_dscnt 0x9
	v_wmma_f32_16x16x16_fp8_fp8 v[120:127], v[167:168], v[171:172], v[120:127]
	s_wait_dscnt 0x8
	v_wmma_f32_16x16x16_fp8_fp8 v[112:119], v[167:168], v[175:176], v[112:119]
	;; [unrolled: 2-line block ×3, first 2 shown]
	v_wmma_f32_16x16x16_fp8_fp8 v[104:111], v[179:180], v[175:176], v[104:111]
	s_wait_dscnt 0x6
	v_wmma_f32_16x16x16_fp8_fp8 v[88:95], v[183:184], v[171:172], v[88:95]
	v_wmma_f32_16x16x16_fp8_fp8 v[80:87], v[183:184], v[175:176], v[80:87]
	s_wait_dscnt 0x5
	v_wmma_f32_16x16x16_fp8_fp8 v[64:71], v[187:188], v[171:172], v[64:71]
	;; [unrolled: 3-line block ×6, first 2 shown]
	v_wmma_f32_16x16x16_fp8_fp8 v[8:15], v[203:204], v[175:176], v[8:15]
	v_wmma_f32_16x16x16_fp8_fp8 v[120:127], v[169:170], v[173:174], v[120:127]
	;; [unrolled: 1-line block ×3, first 2 shown]
	ds_load_b128 v[167:170], v140 offset:18496
	v_wmma_f32_16x16x16_fp8_fp8 v[96:103], v[181:182], v[173:174], v[96:103]
	v_wmma_f32_16x16x16_fp8_fp8 v[104:111], v[181:182], v[177:178], v[104:111]
	v_wmma_f32_16x16x16_fp8_fp8 v[88:95], v[185:186], v[173:174], v[88:95]
	v_wmma_f32_16x16x16_fp8_fp8 v[80:87], v[185:186], v[177:178], v[80:87]
	ds_load_b128 v[183:186], v208 offset:4624
	v_wmma_f32_16x16x16_fp8_fp8 v[64:71], v[189:190], v[173:174], v[64:71]
	v_wmma_f32_16x16x16_fp8_fp8 v[72:79], v[189:190], v[177:178], v[72:79]
	ds_load_b128 v[187:190], v208 offset:5136
	v_wmma_f32_16x16x16_fp8_fp8 v[56:63], v[193:194], v[173:174], v[56:63]
	v_wmma_f32_16x16x16_fp8_fp8 v[48:55], v[193:194], v[177:178], v[48:55]
	ds_load_b128 v[191:194], v208 offset:5648
	v_wmma_f32_16x16x16_fp8_fp8 v[32:39], v[197:198], v[173:174], v[32:39]
	v_wmma_f32_16x16x16_fp8_fp8 v[40:47], v[197:198], v[177:178], v[40:47]
	ds_load_b128 v[195:198], v208 offset:6160
	v_wmma_f32_16x16x16_fp8_fp8 v[24:31], v[201:202], v[173:174], v[24:31]
	v_wmma_f32_16x16x16_fp8_fp8 v[16:23], v[201:202], v[177:178], v[16:23]
	ds_load_b128 v[199:202], v208 offset:6672
	v_wmma_f32_16x16x16_fp8_fp8 v[0:7], v[205:206], v[173:174], v[0:7]
	ds_load_b128 v[171:174], v208 offset:7184
	v_wmma_f32_16x16x16_fp8_fp8 v[8:15], v[205:206], v[177:178], v[8:15]
	ds_load_b128 v[175:178], v208 offset:7696
	ds_load_b128 v[179:182], v140 offset:19520
	s_wait_dscnt 0x8
	v_wmma_f32_16x16x16_fp8_fp8 v[120:127], v[211:212], v[167:168], v[120:127]
	s_wait_dscnt 0x0
	v_wmma_f32_16x16x16_fp8_fp8 v[96:103], v[183:184], v[167:168], v[96:103]
	s_barrier_signal -1
	s_barrier_wait -1
	v_wmma_f32_16x16x16_fp8_fp8 v[88:95], v[187:188], v[167:168], v[88:95]
	v_wmma_f32_16x16x16_fp8_fp8 v[120:127], v[213:214], v[169:170], v[120:127]
	;; [unrolled: 1-line block ×4, first 2 shown]
	s_delay_alu instid0(VALU_DEP_4) | instskip(SKIP_1) | instid1(VALU_DEP_3)
	v_wmma_f32_16x16x16_fp8_fp8 v[88:95], v[189:190], v[169:170], v[88:95]
	v_wmma_f32_16x16x16_fp8_fp8 v[56:63], v[195:196], v[167:168], v[56:63]
	;; [unrolled: 1-line block ×5, first 2 shown]
	s_delay_alu instid0(VALU_DEP_4)
	v_wmma_f32_16x16x16_fp8_fp8 v[56:63], v[197:198], v[169:170], v[56:63]
	v_wmma_f32_16x16x16_fp8_fp8 v[0:7], v[175:176], v[167:168], v[0:7]
	;; [unrolled: 1-line block ×21, first 2 shown]
	s_wait_loadcnt 0x5
	ds_store_b128 v137, v[143:146]
	s_wait_loadcnt 0x1
	v_and_b32_e32 v167, 0xff0000, v161
	v_and_b32_e32 v168, 0xff000000, v161
	v_and_b32_e32 v171, 0xffff0000, v162
	v_and_b32_e32 v172, 0xff, v162
	v_and_b32_e32 v162, 0xff00, v162
	s_delay_alu instid0(VALU_DEP_4) | instskip(SKIP_1) | instid1(VALU_DEP_3)
	v_or3_b32 v167, v136, v168, v167
	v_and_b32_e32 v168, 0xff, v161
	v_or3_b32 v162, v162, v171, v172
	s_delay_alu instid0(VALU_DEP_3) | instskip(NEXT) | instid1(VALU_DEP_2)
	v_and_or_b32 v161, 0xff00, v161, v167
	v_or3_b32 v144, v162, 0, 0
	s_delay_alu instid0(VALU_DEP_2)
	v_or_b32_e32 v143, v161, v168
	ds_store_b128 v137, v[147:150] offset:16
	ds_store_b128 v137, v[151:154] offset:32
	;; [unrolled: 1-line block ×3, first 2 shown]
	s_wait_loadcnt 0x0
	ds_store_b128 v138, v[163:166] offset:16432
	ds_store_2addr_b64 v142, v[159:160], v[143:144] offset0:8 offset1:9
	s_cbranch_scc1 .LBB3_1
; %bb.2:
	s_wait_dscnt 0x0
	s_barrier_signal -1
	s_barrier_wait -1
	ds_load_b128 v[204:207], v208
	ds_load_b128 v[136:139], v140 offset:16432
	ds_load_b128 v[148:151], v140 offset:17456
	;; [unrolled: 1-line block ×15, first 2 shown]
	v_and_b32_e32 v133, 8, v132
	v_and_b32_e32 v132, 48, v132
	;; [unrolled: 1-line block ×3, first 2 shown]
	ds_load_b128 v[156:159], v208 offset:3072
	ds_load_b128 v[140:143], v208 offset:3584
	v_lshlrev_b32_e32 v209, 2, v134
	s_wait_dscnt 0x10
	v_wmma_f32_16x16x16_fp8_fp8 v[120:127], v[204:205], v[136:137], v[120:127]
	v_and_or_b32 v133, v210, 16, v133
	v_lshlrev_b32_e32 v212, 2, v132
	s_delay_alu instid0(VALU_DEP_3) | instskip(NEXT) | instid1(VALU_DEP_3)
	v_wmma_f32_16x16x16_fp8_fp8 v[120:127], v[206:207], v[138:139], v[120:127]
	v_lshlrev_b32_e32 v213, 8, v133
	ds_load_b128 v[152:155], v208 offset:7184
	ds_load_b128 v[132:135], v208 offset:7696
	v_lshlrev_b32_e32 v208, 2, v211
	s_wait_dscnt 0x0
	v_wmma_f32_16x16x16_fp8_fp8 v[120:127], v[200:201], v[128:129], v[120:127]
	v_or3_b32 v209, v212, v213, v209
	s_barrier_signal -1
	v_lshl_or_b32 v208, v210, 8, v208
	s_barrier_wait -1
	v_wmma_f32_16x16x16_fp8_fp8 v[120:127], v[202:203], v[130:131], v[120:127]
	ds_store_2addr_stride64_b32 v209, v120, v121 offset1:1
	ds_store_2addr_stride64_b32 v209, v122, v123 offset0:2 offset1:3
	ds_store_2addr_stride64_b32 v209, v124, v125 offset0:4 offset1:5
	;; [unrolled: 1-line block ×3, first 2 shown]
	s_wait_dscnt 0x0
	s_barrier_signal -1
	s_barrier_wait -1
	ds_load_b128 v[120:123], v208
	s_wait_dscnt 0x0
	v_and_b32_e32 v124, 0x7f800000, v120
	s_delay_alu instid0(VALU_DEP_1)
	v_cmp_ne_u32_e32 vcc_lo, 0x7f800000, v124
	v_mov_b32_e32 v124, 0x80
	s_and_saveexec_b32 s1, vcc_lo
	s_cbranch_execz .LBB3_10
; %bb.3:
	v_mov_b32_e32 v124, 0
	s_mov_b32 s2, exec_lo
	v_cmpx_ne_u32_e32 0, v120
	s_cbranch_execz .LBB3_9
; %bb.4:
	v_bfe_u32 v124, v120, 23, 8
	s_delay_alu instid0(VALU_DEP_1) | instskip(SKIP_1) | instid1(VALU_DEP_2)
	v_sub_nc_u32_e32 v126, 0x78, v124
	v_cmp_gt_u32_e32 vcc_lo, 0x79, v124
	v_dual_cndmask_b32 v126, 0, v126 :: v_dual_and_b32 v125, 0x7fffff, v120
	s_delay_alu instid0(VALU_DEP_1) | instskip(SKIP_2) | instid1(VALU_DEP_2)
	v_or_b32_e32 v127, 0x800000, v125
	v_cmp_eq_u32_e32 vcc_lo, 0, v124
	s_wait_alu 0xfffd
	v_dual_cndmask_b32 v125, v127, v125 :: v_dual_add_nc_u32 v124, 0xffffff89, v124
	v_cndmask_b32_e64 v126, v126, 0x77, vcc_lo
	s_delay_alu instid0(VALU_DEP_2) | instskip(NEXT) | instid1(VALU_DEP_2)
	v_cndmask_b32_e64 v124, v124, 0xffffff8a, vcc_lo
	v_lshrrev_b32_e32 v212, v126, v125
	v_lshl_add_u32 v127, 0x100000, v126, -1
	v_lshlrev_b32_e64 v214, v126, 0x80000
	s_delay_alu instid0(VALU_DEP_4) | instskip(NEXT) | instid1(VALU_DEP_4)
	v_add_nc_u32_e32 v126, v126, v124
	v_bfe_u32 v213, v212, 20, 1
	s_delay_alu instid0(VALU_DEP_4) | instskip(NEXT) | instid1(VALU_DEP_2)
	v_and_b32_e32 v125, v127, v125
	v_add_nc_u32_e32 v127, -1, v213
	s_delay_alu instid0(VALU_DEP_2) | instskip(NEXT) | instid1(VALU_DEP_1)
	v_cmp_eq_u32_e64 s0, v125, v214
	v_cndmask_b32_e64 v125, 0, v127, s0
	v_lshrrev_b32_e32 v127, 23, v212
	s_mov_b32 s0, exec_lo
	s_delay_alu instid0(VALU_DEP_2) | instskip(NEXT) | instid1(VALU_DEP_2)
	v_add_nc_u32_e32 v125, v125, v212
	v_xor_b32_e32 v127, 1, v127
	s_delay_alu instid0(VALU_DEP_2) | instskip(NEXT) | instid1(VALU_DEP_1)
	v_and_b32_e32 v124, 0xfffff, v125
	v_add_nc_u32_e32 v125, v124, v212
                                        ; implicit-def: $vgpr124
	s_delay_alu instid0(VALU_DEP_3)
	v_cmpx_ne_u32_e64 v126, v127
	s_wait_alu 0xfffe
	s_xor_b32 s0, exec_lo, s0
; %bb.5:
	s_delay_alu instid0(VALU_DEP_2) | instskip(SKIP_3) | instid1(VALU_DEP_2)
	v_cmp_lt_u32_e32 vcc_lo, 0xffffff, v125
	v_sub_nc_u32_e32 v124, v126, v127
	s_wait_alu 0xfffd
	v_cndmask_b32_e64 v126, 0, 1, vcc_lo
	v_add_co_ci_u32_e64 v124, null, 0, v124, vcc_lo
	s_delay_alu instid0(VALU_DEP_2)
	v_lshrrev_b32_e32 v125, v126, v125
; %bb.6:
	s_wait_alu 0xfffe
	s_and_not1_saveexec_b32 s0, s0
; %bb.7:
	s_delay_alu instid0(VALU_DEP_1)
	v_bfe_u32 v124, v125, 23, 1
; %bb.8:
	s_wait_alu 0xfffe
	s_or_b32 exec_lo, exec_lo, s0
	v_lshrrev_b32_e32 v125, 20, v125
	s_delay_alu instid0(VALU_DEP_2) | instskip(SKIP_3) | instid1(VALU_DEP_2)
	v_cmp_gt_i32_e32 vcc_lo, 16, v124
	v_min_i32_e32 v126, 15, v124
	v_lshrrev_b32_e32 v120, 24, v120
	s_wait_alu 0xfffd
	v_dual_cndmask_b32 v125, 7, v125 :: v_dual_lshlrev_b32 v126, 3, v126
	s_delay_alu instid0(VALU_DEP_2) | instskip(NEXT) | instid1(VALU_DEP_2)
	v_and_b32_e32 v120, 0x80, v120
	v_or_b32_e32 v124, v124, v125
	s_delay_alu instid0(VALU_DEP_3) | instskip(NEXT) | instid1(VALU_DEP_2)
	v_and_b32_e32 v126, 0xf8, v126
	v_cmp_ne_u32_e32 vcc_lo, 0, v124
	v_and_b32_e32 v127, 7, v125
	s_delay_alu instid0(VALU_DEP_1) | instskip(SKIP_1) | instid1(VALU_DEP_1)
	v_or3_b32 v120, v126, v120, v127
	s_wait_alu 0xfffd
	v_cndmask_b32_e32 v124, 0, v120, vcc_lo
.LBB3_9:
	s_or_b32 exec_lo, exec_lo, s2
.LBB3_10:
	s_delay_alu instid0(SALU_CYCLE_1) | instskip(SKIP_3) | instid1(VALU_DEP_2)
	s_or_b32 exec_lo, exec_lo, s1
	v_and_b32_e32 v120, 0x7f800000, v121
	v_mov_b32_e32 v125, 0x8000
	s_mov_b32 s1, exec_lo
	v_cmpx_ne_u32_e32 0x7f800000, v120
	s_cbranch_execz .LBB3_18
; %bb.11:
	v_mov_b32_e32 v125, 0
	s_mov_b32 s2, exec_lo
	v_cmpx_ne_u32_e32 0, v121
	s_cbranch_execz .LBB3_17
; %bb.12:
	v_bfe_u32 v120, v121, 23, 8
	s_delay_alu instid0(VALU_DEP_1) | instskip(SKIP_2) | instid1(VALU_DEP_2)
	v_sub_nc_u32_e32 v126, 0x78, v120
	v_cmp_gt_u32_e32 vcc_lo, 0x79, v120
	s_wait_alu 0xfffd
	v_dual_cndmask_b32 v126, 0, v126 :: v_dual_and_b32 v125, 0x7fffff, v121
	s_delay_alu instid0(VALU_DEP_1) | instskip(SKIP_2) | instid1(VALU_DEP_2)
	v_or_b32_e32 v127, 0x800000, v125
	v_cmp_eq_u32_e32 vcc_lo, 0, v120
	s_wait_alu 0xfffd
	v_dual_cndmask_b32 v125, v127, v125 :: v_dual_add_nc_u32 v120, 0xffffff89, v120
	v_cndmask_b32_e64 v126, v126, 0x77, vcc_lo
	s_delay_alu instid0(VALU_DEP_2) | instskip(NEXT) | instid1(VALU_DEP_2)
	v_cndmask_b32_e64 v120, v120, 0xffffff8a, vcc_lo
	v_lshrrev_b32_e32 v212, v126, v125
	v_lshl_add_u32 v127, 0x100000, v126, -1
	v_lshlrev_b32_e64 v214, v126, 0x80000
	s_delay_alu instid0(VALU_DEP_4) | instskip(NEXT) | instid1(VALU_DEP_4)
	v_add_nc_u32_e32 v126, v126, v120
	v_bfe_u32 v213, v212, 20, 1
	s_delay_alu instid0(VALU_DEP_4) | instskip(NEXT) | instid1(VALU_DEP_2)
	v_and_b32_e32 v125, v127, v125
	v_add_nc_u32_e32 v127, -1, v213
	s_delay_alu instid0(VALU_DEP_2) | instskip(SKIP_1) | instid1(VALU_DEP_1)
	v_cmp_eq_u32_e64 s0, v125, v214
	s_wait_alu 0xf1ff
	v_cndmask_b32_e64 v125, 0, v127, s0
	v_lshrrev_b32_e32 v127, 23, v212
	s_mov_b32 s0, exec_lo
	s_delay_alu instid0(VALU_DEP_2) | instskip(NEXT) | instid1(VALU_DEP_2)
	v_add_nc_u32_e32 v125, v125, v212
	v_xor_b32_e32 v127, 1, v127
	s_delay_alu instid0(VALU_DEP_2) | instskip(NEXT) | instid1(VALU_DEP_1)
	v_and_b32_e32 v120, 0xfffff, v125
	v_add_nc_u32_e32 v125, v120, v212
                                        ; implicit-def: $vgpr120
	s_delay_alu instid0(VALU_DEP_3)
	v_cmpx_ne_u32_e64 v126, v127
	s_wait_alu 0xfffe
	s_xor_b32 s0, exec_lo, s0
; %bb.13:
	s_delay_alu instid0(VALU_DEP_2) | instskip(SKIP_3) | instid1(VALU_DEP_2)
	v_cmp_lt_u32_e32 vcc_lo, 0xffffff, v125
	v_sub_nc_u32_e32 v120, v126, v127
	s_wait_alu 0xfffd
	v_cndmask_b32_e64 v126, 0, 1, vcc_lo
	v_add_co_ci_u32_e64 v120, null, 0, v120, vcc_lo
	s_delay_alu instid0(VALU_DEP_2)
	v_lshrrev_b32_e32 v125, v126, v125
; %bb.14:
	s_wait_alu 0xfffe
	s_and_not1_saveexec_b32 s0, s0
; %bb.15:
	s_delay_alu instid0(VALU_DEP_1)
	v_bfe_u32 v120, v125, 23, 1
; %bb.16:
	s_wait_alu 0xfffe
	s_or_b32 exec_lo, exec_lo, s0
	v_lshrrev_b32_e32 v125, 20, v125
	s_delay_alu instid0(VALU_DEP_2) | instskip(SKIP_3) | instid1(VALU_DEP_2)
	v_cmp_gt_i32_e32 vcc_lo, 16, v120
	v_min_i32_e32 v126, 15, v120
	v_lshrrev_b32_e32 v121, 24, v121
	s_wait_alu 0xfffd
	v_dual_cndmask_b32 v125, 7, v125 :: v_dual_lshlrev_b32 v126, 3, v126
	s_delay_alu instid0(VALU_DEP_2) | instskip(NEXT) | instid1(VALU_DEP_2)
	v_and_b32_e32 v121, 0x80, v121
	v_or_b32_e32 v120, v120, v125
	v_and_b32_e32 v127, 7, v125
	s_delay_alu instid0(VALU_DEP_2) | instskip(SKIP_1) | instid1(VALU_DEP_1)
	v_cmp_ne_u32_e32 vcc_lo, 0, v120
	v_and_b32_e32 v126, 0xf8, v126
	v_or3_b32 v121, v121, v126, v127
	s_delay_alu instid0(VALU_DEP_1) | instskip(SKIP_1) | instid1(VALU_DEP_1)
	v_lshlrev_b32_e32 v121, 8, v121
	s_wait_alu 0xfffd
	v_cndmask_b32_e32 v125, 0, v121, vcc_lo
.LBB3_17:
	s_or_b32 exec_lo, exec_lo, s2
.LBB3_18:
	s_wait_alu 0xfffe
	s_or_b32 exec_lo, exec_lo, s1
	v_and_b32_e32 v120, 0x7f800000, v122
	v_mov_b32_e32 v126, 0x800000
	s_mov_b32 s1, exec_lo
	s_delay_alu instid0(VALU_DEP_2)
	v_cmpx_ne_u32_e32 0x7f800000, v120
	s_cbranch_execz .LBB3_26
; %bb.19:
	v_mov_b32_e32 v126, 0
	s_mov_b32 s2, exec_lo
	v_cmpx_ne_u32_e32 0, v122
	s_cbranch_execz .LBB3_25
; %bb.20:
	v_bfe_u32 v120, v122, 23, 8
	v_and_b32_e32 v121, 0x7fffff, v122
	s_delay_alu instid0(VALU_DEP_2) | instskip(SKIP_1) | instid1(VALU_DEP_3)
	v_sub_nc_u32_e32 v126, 0x78, v120
	v_cmp_gt_u32_e32 vcc_lo, 0x79, v120
	v_or_b32_e32 v127, 0x800000, v121
	s_wait_alu 0xfffd
	s_delay_alu instid0(VALU_DEP_3) | instskip(SKIP_3) | instid1(VALU_DEP_3)
	v_cndmask_b32_e32 v126, 0, v126, vcc_lo
	v_cmp_eq_u32_e32 vcc_lo, 0, v120
	s_wait_alu 0xfffd
	v_dual_cndmask_b32 v121, v127, v121 :: v_dual_add_nc_u32 v120, 0xffffff89, v120
	v_cndmask_b32_e64 v126, v126, 0x77, vcc_lo
	s_delay_alu instid0(VALU_DEP_2) | instskip(NEXT) | instid1(VALU_DEP_2)
	v_cndmask_b32_e64 v120, v120, 0xffffff8a, vcc_lo
	v_lshrrev_b32_e32 v212, v126, v121
	v_lshl_add_u32 v127, 0x100000, v126, -1
	v_lshlrev_b32_e64 v214, v126, 0x80000
	s_delay_alu instid0(VALU_DEP_4) | instskip(NEXT) | instid1(VALU_DEP_4)
	v_add_nc_u32_e32 v126, v126, v120
	v_bfe_u32 v213, v212, 20, 1
	s_delay_alu instid0(VALU_DEP_4) | instskip(NEXT) | instid1(VALU_DEP_2)
	v_and_b32_e32 v121, v127, v121
	v_add_nc_u32_e32 v127, -1, v213
	s_delay_alu instid0(VALU_DEP_2) | instskip(SKIP_1) | instid1(VALU_DEP_1)
	v_cmp_eq_u32_e64 s0, v121, v214
	s_wait_alu 0xf1ff
	v_cndmask_b32_e64 v121, 0, v127, s0
	v_lshrrev_b32_e32 v127, 23, v212
	s_mov_b32 s0, exec_lo
	s_delay_alu instid0(VALU_DEP_2) | instskip(NEXT) | instid1(VALU_DEP_2)
	v_add_nc_u32_e32 v121, v121, v212
	v_xor_b32_e32 v127, 1, v127
	s_delay_alu instid0(VALU_DEP_2) | instskip(NEXT) | instid1(VALU_DEP_1)
	v_and_b32_e32 v120, 0xfffff, v121
	v_add_nc_u32_e32 v121, v120, v212
                                        ; implicit-def: $vgpr120
	s_delay_alu instid0(VALU_DEP_3)
	v_cmpx_ne_u32_e64 v126, v127
	s_wait_alu 0xfffe
	s_xor_b32 s0, exec_lo, s0
; %bb.21:
	s_delay_alu instid0(VALU_DEP_2) | instskip(SKIP_3) | instid1(VALU_DEP_2)
	v_cmp_lt_u32_e32 vcc_lo, 0xffffff, v121
	v_sub_nc_u32_e32 v120, v126, v127
	s_wait_alu 0xfffd
	v_cndmask_b32_e64 v126, 0, 1, vcc_lo
	v_add_co_ci_u32_e64 v120, null, 0, v120, vcc_lo
	s_delay_alu instid0(VALU_DEP_2)
	v_lshrrev_b32_e32 v121, v126, v121
; %bb.22:
	s_wait_alu 0xfffe
	s_and_not1_saveexec_b32 s0, s0
; %bb.23:
	s_delay_alu instid0(VALU_DEP_1)
	v_bfe_u32 v120, v121, 23, 1
; %bb.24:
	s_wait_alu 0xfffe
	s_or_b32 exec_lo, exec_lo, s0
	v_lshrrev_b32_e32 v121, 20, v121
	s_delay_alu instid0(VALU_DEP_2) | instskip(SKIP_3) | instid1(VALU_DEP_3)
	v_min_i32_e32 v126, 15, v120
	v_cmp_gt_i32_e32 vcc_lo, 16, v120
	v_lshrrev_b32_e32 v122, 24, v122
	s_wait_alu 0xfffd
	v_dual_cndmask_b32 v121, 7, v121 :: v_dual_lshlrev_b32 v126, 3, v126
	s_delay_alu instid0(VALU_DEP_2) | instskip(NEXT) | instid1(VALU_DEP_2)
	v_and_b32_e32 v122, 0x80, v122
	v_and_b32_e32 v126, 0xf8, v126
	s_delay_alu instid0(VALU_DEP_3) | instskip(SKIP_1) | instid1(VALU_DEP_2)
	v_and_b32_e32 v127, 7, v121
	v_or_b32_e32 v120, v120, v121
	v_or3_b32 v122, v122, v126, v127
	s_delay_alu instid0(VALU_DEP_2) | instskip(NEXT) | instid1(VALU_DEP_2)
	v_cmp_ne_u32_e32 vcc_lo, 0, v120
	v_lshlrev_b32_e32 v121, 16, v122
	s_wait_alu 0xfffd
	s_delay_alu instid0(VALU_DEP_1)
	v_cndmask_b32_e32 v126, 0, v121, vcc_lo
.LBB3_25:
	s_or_b32 exec_lo, exec_lo, s2
.LBB3_26:
	s_wait_alu 0xfffe
	s_or_b32 exec_lo, exec_lo, s1
	v_and_b32_e32 v120, 0x7f800000, v123
	v_bfrev_b32_e32 v127, 1
	s_mov_b32 s1, exec_lo
	s_delay_alu instid0(VALU_DEP_2)
	v_cmpx_ne_u32_e32 0x7f800000, v120
	s_cbranch_execz .LBB3_34
; %bb.27:
	v_mov_b32_e32 v127, 0
	s_mov_b32 s2, exec_lo
	v_cmpx_ne_u32_e32 0, v123
	s_cbranch_execz .LBB3_33
; %bb.28:
	v_bfe_u32 v120, v123, 23, 8
	s_delay_alu instid0(VALU_DEP_1) | instskip(SKIP_2) | instid1(VALU_DEP_2)
	v_sub_nc_u32_e32 v122, 0x78, v120
	v_cmp_gt_u32_e32 vcc_lo, 0x79, v120
	s_wait_alu 0xfffd
	v_dual_cndmask_b32 v122, 0, v122 :: v_dual_and_b32 v121, 0x7fffff, v123
	s_delay_alu instid0(VALU_DEP_1) | instskip(SKIP_2) | instid1(VALU_DEP_2)
	v_or_b32_e32 v127, 0x800000, v121
	v_cmp_eq_u32_e32 vcc_lo, 0, v120
	s_wait_alu 0xfffd
	v_dual_cndmask_b32 v121, v127, v121 :: v_dual_add_nc_u32 v120, 0xffffff89, v120
	v_cndmask_b32_e64 v122, v122, 0x77, vcc_lo
	s_delay_alu instid0(VALU_DEP_2) | instskip(NEXT) | instid1(VALU_DEP_2)
	v_cndmask_b32_e64 v120, v120, 0xffffff8a, vcc_lo
	v_lshrrev_b32_e32 v212, v122, v121
	v_lshl_add_u32 v127, 0x100000, v122, -1
	v_lshlrev_b32_e64 v214, v122, 0x80000
	s_delay_alu instid0(VALU_DEP_4) | instskip(NEXT) | instid1(VALU_DEP_4)
	v_add_nc_u32_e32 v122, v122, v120
	v_bfe_u32 v213, v212, 20, 1
	s_delay_alu instid0(VALU_DEP_4) | instskip(NEXT) | instid1(VALU_DEP_2)
	v_and_b32_e32 v121, v127, v121
	v_add_nc_u32_e32 v127, -1, v213
	s_delay_alu instid0(VALU_DEP_2) | instskip(SKIP_1) | instid1(VALU_DEP_1)
	v_cmp_eq_u32_e64 s0, v121, v214
	s_wait_alu 0xf1ff
	v_cndmask_b32_e64 v121, 0, v127, s0
	v_lshrrev_b32_e32 v127, 23, v212
	s_mov_b32 s0, exec_lo
	s_delay_alu instid0(VALU_DEP_2) | instskip(NEXT) | instid1(VALU_DEP_2)
	v_add_nc_u32_e32 v121, v121, v212
	v_xor_b32_e32 v127, 1, v127
	s_delay_alu instid0(VALU_DEP_2) | instskip(NEXT) | instid1(VALU_DEP_1)
	v_and_b32_e32 v120, 0xfffff, v121
	v_add_nc_u32_e32 v121, v120, v212
                                        ; implicit-def: $vgpr120
	s_delay_alu instid0(VALU_DEP_3)
	v_cmpx_ne_u32_e64 v122, v127
	s_wait_alu 0xfffe
	s_xor_b32 s0, exec_lo, s0
; %bb.29:
	s_delay_alu instid0(VALU_DEP_2) | instskip(SKIP_3) | instid1(VALU_DEP_2)
	v_cmp_lt_u32_e32 vcc_lo, 0xffffff, v121
	v_sub_nc_u32_e32 v120, v122, v127
	s_wait_alu 0xfffd
	v_cndmask_b32_e64 v122, 0, 1, vcc_lo
	v_add_co_ci_u32_e64 v120, null, 0, v120, vcc_lo
	s_delay_alu instid0(VALU_DEP_2)
	v_lshrrev_b32_e32 v121, v122, v121
; %bb.30:
	s_wait_alu 0xfffe
	s_and_not1_saveexec_b32 s0, s0
; %bb.31:
	s_delay_alu instid0(VALU_DEP_1)
	v_bfe_u32 v120, v121, 23, 1
; %bb.32:
	s_wait_alu 0xfffe
	s_or_b32 exec_lo, exec_lo, s0
	v_lshrrev_b32_e32 v121, 20, v121
	s_delay_alu instid0(VALU_DEP_2) | instskip(SKIP_3) | instid1(VALU_DEP_2)
	v_cmp_gt_i32_e32 vcc_lo, 16, v120
	v_lshrrev_b32_e32 v122, 24, v123
	v_min_i32_e32 v123, 15, v120
	s_wait_alu 0xfffd
	v_dual_cndmask_b32 v121, 7, v121 :: v_dual_and_b32 v122, 0x80, v122
	s_delay_alu instid0(VALU_DEP_2) | instskip(NEXT) | instid1(VALU_DEP_2)
	v_lshlrev_b32_e32 v123, 3, v123
	v_and_b32_e32 v127, 7, v121
	v_or_b32_e32 v120, v120, v121
	s_delay_alu instid0(VALU_DEP_2) | instskip(NEXT) | instid1(VALU_DEP_2)
	v_or3_b32 v122, v122, v123, v127
	v_cmp_ne_u32_e32 vcc_lo, 0, v120
	s_delay_alu instid0(VALU_DEP_2) | instskip(SKIP_1) | instid1(VALU_DEP_1)
	v_lshlrev_b32_e32 v121, 24, v122
	s_wait_alu 0xfffd
	v_cndmask_b32_e32 v127, 0, v121, vcc_lo
.LBB3_33:
	s_or_b32 exec_lo, exec_lo, s2
.LBB3_34:
	s_wait_alu 0xfffe
	s_or_b32 exec_lo, exec_lo, s1
	ds_load_b128 v[120:123], v208 offset:16
	v_wmma_f32_16x16x16_fp8_fp8 v[112:119], v[204:205], v[148:149], v[112:119]
	v_lshl_or_b32 v204, s30, 7, v211
	v_lshl_or_b32 v205, s31, 8, v210
	v_or_b32_e32 v210, v125, v124
	s_mov_b32 s7, 0
	s_mov_b32 s6, s21
	s_wait_kmcnt 0x0
	s_and_b32 s1, s15, 0xffff
	v_mad_co_u64_u32 v[124:125], null, v205, s21, v[204:205]
	s_wait_alu 0xfffe
	s_mul_u64 s[4:5], s[22:23], s[6:7]
	v_or3_b32 v126, v126, v210, v127
	s_wait_alu 0xfffe
	s_add_nc_u64 s[4:5], s[4:5], s[8:9]
	v_mov_b32_e32 v125, 0x80
	s_mov_b32 s3, 0x31004000
	s_mov_b32 s0, s14
	s_wait_alu 0xfffe
	s_mov_b32 s2, s5
	buffer_store_b32 v126, v124, s[0:3], null offen
	s_mov_b32 s2, exec_lo
	s_wait_dscnt 0x0
	v_and_b32_e32 v211, 0x7f800000, v120
	s_delay_alu instid0(VALU_DEP_1)
	v_cmpx_ne_u32_e32 0x7f800000, v211
	s_cbranch_execz .LBB3_42
; %bb.35:
	v_mov_b32_e32 v125, 0
	s_mov_b32 s4, exec_lo
	v_cmpx_ne_u32_e32 0, v120
	s_cbranch_execz .LBB3_41
; %bb.36:
	v_bfe_u32 v125, v120, 23, 8
	s_delay_alu instid0(VALU_DEP_1) | instskip(SKIP_2) | instid1(VALU_DEP_2)
	v_sub_nc_u32_e32 v127, 0x78, v125
	v_cmp_gt_u32_e32 vcc_lo, 0x79, v125
	s_wait_alu 0xfffd
	v_dual_cndmask_b32 v127, 0, v127 :: v_dual_and_b32 v126, 0x7fffff, v120
	s_delay_alu instid0(VALU_DEP_1) | instskip(SKIP_2) | instid1(VALU_DEP_2)
	v_or_b32_e32 v204, 0x800000, v126
	v_cmp_eq_u32_e32 vcc_lo, 0, v125
	s_wait_alu 0xfffd
	v_dual_cndmask_b32 v126, v204, v126 :: v_dual_add_nc_u32 v125, 0xffffff89, v125
	v_cndmask_b32_e64 v127, v127, 0x77, vcc_lo
	s_delay_alu instid0(VALU_DEP_2) | instskip(NEXT) | instid1(VALU_DEP_2)
	v_cndmask_b32_e64 v125, v125, 0xffffff8a, vcc_lo
	v_lshrrev_b32_e32 v205, v127, v126
	v_lshl_add_u32 v204, 0x100000, v127, -1
	v_lshlrev_b32_e64 v211, v127, 0x80000
	s_delay_alu instid0(VALU_DEP_4) | instskip(NEXT) | instid1(VALU_DEP_4)
	v_add_nc_u32_e32 v127, v127, v125
	v_bfe_u32 v210, v205, 20, 1
	s_delay_alu instid0(VALU_DEP_4) | instskip(NEXT) | instid1(VALU_DEP_2)
	v_and_b32_e32 v126, v204, v126
	v_add_nc_u32_e32 v204, -1, v210
	s_delay_alu instid0(VALU_DEP_2) | instskip(SKIP_1) | instid1(VALU_DEP_1)
	v_cmp_eq_u32_e64 s0, v126, v211
	s_wait_alu 0xf1ff
	v_cndmask_b32_e64 v126, 0, v204, s0
	v_lshrrev_b32_e32 v204, 23, v205
	s_mov_b32 s0, exec_lo
	s_delay_alu instid0(VALU_DEP_2) | instskip(NEXT) | instid1(VALU_DEP_2)
	v_add_nc_u32_e32 v126, v126, v205
	v_xor_b32_e32 v204, 1, v204
	s_delay_alu instid0(VALU_DEP_2) | instskip(NEXT) | instid1(VALU_DEP_1)
	v_and_b32_e32 v125, 0xfffff, v126
	v_add_nc_u32_e32 v126, v125, v205
                                        ; implicit-def: $vgpr125
	s_delay_alu instid0(VALU_DEP_3)
	v_cmpx_ne_u32_e64 v127, v204
	s_wait_alu 0xfffe
	s_xor_b32 s0, exec_lo, s0
; %bb.37:
	s_delay_alu instid0(VALU_DEP_2) | instskip(SKIP_3) | instid1(VALU_DEP_2)
	v_cmp_lt_u32_e32 vcc_lo, 0xffffff, v126
	v_sub_nc_u32_e32 v125, v127, v204
	s_wait_alu 0xfffd
	v_cndmask_b32_e64 v127, 0, 1, vcc_lo
	v_add_co_ci_u32_e64 v125, null, 0, v125, vcc_lo
	s_delay_alu instid0(VALU_DEP_2)
	v_lshrrev_b32_e32 v126, v127, v126
; %bb.38:
	s_wait_alu 0xfffe
	s_and_not1_saveexec_b32 s0, s0
; %bb.39:
	s_delay_alu instid0(VALU_DEP_1)
	v_bfe_u32 v125, v126, 23, 1
; %bb.40:
	s_wait_alu 0xfffe
	s_or_b32 exec_lo, exec_lo, s0
	v_lshrrev_b32_e32 v126, 20, v126
	s_delay_alu instid0(VALU_DEP_2) | instskip(SKIP_3) | instid1(VALU_DEP_2)
	v_cmp_gt_i32_e32 vcc_lo, 16, v125
	v_min_i32_e32 v127, 15, v125
	v_lshrrev_b32_e32 v120, 24, v120
	s_wait_alu 0xfffd
	v_dual_cndmask_b32 v126, 7, v126 :: v_dual_lshlrev_b32 v127, 3, v127
	s_delay_alu instid0(VALU_DEP_2) | instskip(NEXT) | instid1(VALU_DEP_2)
	v_and_b32_e32 v120, 0x80, v120
	v_or_b32_e32 v125, v125, v126
	s_delay_alu instid0(VALU_DEP_3) | instskip(NEXT) | instid1(VALU_DEP_2)
	v_and_b32_e32 v127, 0xf8, v127
	v_cmp_ne_u32_e32 vcc_lo, 0, v125
	v_and_b32_e32 v204, 7, v126
	s_delay_alu instid0(VALU_DEP_1) | instskip(SKIP_1) | instid1(VALU_DEP_1)
	v_or3_b32 v120, v127, v120, v204
	s_wait_alu 0xfffd
	v_cndmask_b32_e32 v125, 0, v120, vcc_lo
.LBB3_41:
	s_wait_alu 0xfffe
	s_or_b32 exec_lo, exec_lo, s4
.LBB3_42:
	s_delay_alu instid0(SALU_CYCLE_1) | instskip(SKIP_2) | instid1(VALU_DEP_2)
	s_or_b32 exec_lo, exec_lo, s2
	v_and_b32_e32 v120, 0x7f800000, v121
	v_wmma_f32_16x16x16_fp8_fp8 v[112:119], v[206:207], v[150:151], v[112:119]
	v_cmp_ne_u32_e32 vcc_lo, 0x7f800000, v120
	v_mov_b32_e32 v120, 0x8000
	s_and_saveexec_b32 s2, vcc_lo
	s_cbranch_execz .LBB3_50
; %bb.43:
	v_mov_b32_e32 v120, 0
	s_mov_b32 s4, exec_lo
	v_cmpx_ne_u32_e32 0, v121
	s_cbranch_execz .LBB3_49
; %bb.44:
	v_bfe_u32 v120, v121, 23, 8
	s_delay_alu instid0(VALU_DEP_1) | instskip(SKIP_2) | instid1(VALU_DEP_2)
	v_sub_nc_u32_e32 v127, 0x78, v120
	v_cmp_gt_u32_e32 vcc_lo, 0x79, v120
	s_wait_alu 0xfffd
	v_dual_cndmask_b32 v127, 0, v127 :: v_dual_and_b32 v126, 0x7fffff, v121
	s_delay_alu instid0(VALU_DEP_1) | instskip(SKIP_4) | instid1(VALU_DEP_2)
	v_or_b32_e32 v204, 0x800000, v126
	v_cmp_eq_u32_e32 vcc_lo, 0, v120
	v_add_nc_u32_e32 v120, 0xffffff89, v120
	s_wait_alu 0xfffd
	v_cndmask_b32_e64 v127, v127, 0x77, vcc_lo
	v_cndmask_b32_e64 v120, v120, 0xffffff8a, vcc_lo
	v_cndmask_b32_e32 v126, v204, v126, vcc_lo
	s_delay_alu instid0(VALU_DEP_3) | instskip(SKIP_1) | instid1(VALU_DEP_3)
	v_lshl_add_u32 v204, 0x100000, v127, -1
	v_lshlrev_b32_e64 v207, v127, 0x80000
	v_lshrrev_b32_e32 v205, v127, v126
	v_add_nc_u32_e32 v127, v127, v120
	s_delay_alu instid0(VALU_DEP_4) | instskip(NEXT) | instid1(VALU_DEP_3)
	v_and_b32_e32 v126, v204, v126
	v_bfe_u32 v206, v205, 20, 1
	s_delay_alu instid0(VALU_DEP_2) | instskip(NEXT) | instid1(VALU_DEP_2)
	v_cmp_eq_u32_e64 s0, v126, v207
	v_add_nc_u32_e32 v204, -1, v206
	s_wait_alu 0xf1ff
	s_delay_alu instid0(VALU_DEP_1) | instskip(SKIP_2) | instid1(VALU_DEP_2)
	v_cndmask_b32_e64 v126, 0, v204, s0
	v_lshrrev_b32_e32 v204, 23, v205
	s_mov_b32 s0, exec_lo
	v_add_nc_u32_e32 v126, v126, v205
	s_delay_alu instid0(VALU_DEP_2) | instskip(NEXT) | instid1(VALU_DEP_2)
	v_xor_b32_e32 v204, 1, v204
	v_and_b32_e32 v120, 0xfffff, v126
	s_delay_alu instid0(VALU_DEP_1) | instskip(NEXT) | instid1(VALU_DEP_3)
	v_add_nc_u32_e32 v126, v120, v205
                                        ; implicit-def: $vgpr120
	v_cmpx_ne_u32_e64 v127, v204
	s_wait_alu 0xfffe
	s_xor_b32 s0, exec_lo, s0
; %bb.45:
	s_delay_alu instid0(VALU_DEP_2) | instskip(SKIP_3) | instid1(VALU_DEP_2)
	v_cmp_lt_u32_e32 vcc_lo, 0xffffff, v126
	v_sub_nc_u32_e32 v120, v127, v204
	s_wait_alu 0xfffd
	v_cndmask_b32_e64 v127, 0, 1, vcc_lo
	v_add_co_ci_u32_e64 v120, null, 0, v120, vcc_lo
	s_delay_alu instid0(VALU_DEP_2)
	v_lshrrev_b32_e32 v126, v127, v126
; %bb.46:
	s_wait_alu 0xfffe
	s_and_not1_saveexec_b32 s0, s0
; %bb.47:
	s_delay_alu instid0(VALU_DEP_1)
	v_bfe_u32 v120, v126, 23, 1
; %bb.48:
	s_wait_alu 0xfffe
	s_or_b32 exec_lo, exec_lo, s0
	v_lshrrev_b32_e32 v126, 20, v126
	s_delay_alu instid0(VALU_DEP_2) | instskip(SKIP_3) | instid1(VALU_DEP_2)
	v_cmp_gt_i32_e32 vcc_lo, 16, v120
	v_min_i32_e32 v127, 15, v120
	v_lshrrev_b32_e32 v121, 24, v121
	s_wait_alu 0xfffd
	v_dual_cndmask_b32 v126, 7, v126 :: v_dual_lshlrev_b32 v127, 3, v127
	s_delay_alu instid0(VALU_DEP_2) | instskip(NEXT) | instid1(VALU_DEP_2)
	v_and_b32_e32 v121, 0x80, v121
	v_or_b32_e32 v120, v120, v126
	v_and_b32_e32 v204, 7, v126
	s_delay_alu instid0(VALU_DEP_2) | instskip(SKIP_1) | instid1(VALU_DEP_1)
	v_cmp_ne_u32_e32 vcc_lo, 0, v120
	v_and_b32_e32 v127, 0xf8, v127
	v_or3_b32 v121, v121, v127, v204
	s_delay_alu instid0(VALU_DEP_1) | instskip(SKIP_1) | instid1(VALU_DEP_1)
	v_lshlrev_b32_e32 v121, 8, v121
	s_wait_alu 0xfffd
	v_cndmask_b32_e32 v120, 0, v121, vcc_lo
.LBB3_49:
	s_wait_alu 0xfffe
	s_or_b32 exec_lo, exec_lo, s4
.LBB3_50:
	s_delay_alu instid0(SALU_CYCLE_1) | instskip(SKIP_2) | instid1(VALU_DEP_2)
	s_or_b32 exec_lo, exec_lo, s2
	v_and_b32_e32 v121, 0x7f800000, v122
	v_wmma_f32_16x16x16_fp8_fp8 v[112:119], v[200:201], v[144:145], v[112:119]
	v_cmp_ne_u32_e32 vcc_lo, 0x7f800000, v121
	v_mov_b32_e32 v121, 0x800000
	s_and_saveexec_b32 s2, vcc_lo
	s_cbranch_execz .LBB3_58
; %bb.51:
	v_mov_b32_e32 v121, 0
	s_mov_b32 s4, exec_lo
	v_cmpx_ne_u32_e32 0, v122
	s_cbranch_execz .LBB3_57
; %bb.52:
	v_bfe_u32 v121, v122, 23, 8
	s_delay_alu instid0(VALU_DEP_1) | instskip(SKIP_2) | instid1(VALU_DEP_2)
	v_sub_nc_u32_e32 v127, 0x78, v121
	v_cmp_gt_u32_e32 vcc_lo, 0x79, v121
	s_wait_alu 0xfffd
	v_dual_cndmask_b32 v127, 0, v127 :: v_dual_and_b32 v126, 0x7fffff, v122
	s_delay_alu instid0(VALU_DEP_1) | instskip(SKIP_2) | instid1(VALU_DEP_2)
	v_or_b32_e32 v200, 0x800000, v126
	v_cmp_eq_u32_e32 vcc_lo, 0, v121
	s_wait_alu 0xfffd
	v_dual_cndmask_b32 v126, v200, v126 :: v_dual_add_nc_u32 v121, 0xffffff89, v121
	v_cndmask_b32_e64 v127, v127, 0x77, vcc_lo
	s_delay_alu instid0(VALU_DEP_2) | instskip(NEXT) | instid1(VALU_DEP_2)
	v_cndmask_b32_e64 v121, v121, 0xffffff8a, vcc_lo
	v_lshrrev_b32_e32 v201, v127, v126
	v_lshl_add_u32 v200, 0x100000, v127, -1
	v_lshlrev_b32_e64 v205, v127, 0x80000
	s_delay_alu instid0(VALU_DEP_4) | instskip(NEXT) | instid1(VALU_DEP_4)
	v_add_nc_u32_e32 v127, v127, v121
	v_bfe_u32 v204, v201, 20, 1
	s_delay_alu instid0(VALU_DEP_4) | instskip(NEXT) | instid1(VALU_DEP_2)
	v_and_b32_e32 v126, v200, v126
	v_add_nc_u32_e32 v200, -1, v204
	s_delay_alu instid0(VALU_DEP_2) | instskip(SKIP_1) | instid1(VALU_DEP_1)
	v_cmp_eq_u32_e64 s0, v126, v205
	s_wait_alu 0xf1ff
	v_cndmask_b32_e64 v126, 0, v200, s0
	v_lshrrev_b32_e32 v200, 23, v201
	s_mov_b32 s0, exec_lo
	s_delay_alu instid0(VALU_DEP_2) | instskip(NEXT) | instid1(VALU_DEP_2)
	v_add_nc_u32_e32 v126, v126, v201
	v_xor_b32_e32 v200, 1, v200
	s_delay_alu instid0(VALU_DEP_2) | instskip(NEXT) | instid1(VALU_DEP_1)
	v_and_b32_e32 v121, 0xfffff, v126
	v_add_nc_u32_e32 v126, v121, v201
                                        ; implicit-def: $vgpr121
	s_delay_alu instid0(VALU_DEP_3)
	v_cmpx_ne_u32_e64 v127, v200
	s_wait_alu 0xfffe
	s_xor_b32 s0, exec_lo, s0
; %bb.53:
	s_delay_alu instid0(VALU_DEP_2) | instskip(SKIP_3) | instid1(VALU_DEP_2)
	v_cmp_lt_u32_e32 vcc_lo, 0xffffff, v126
	v_sub_nc_u32_e32 v121, v127, v200
	s_wait_alu 0xfffd
	v_cndmask_b32_e64 v127, 0, 1, vcc_lo
	v_add_co_ci_u32_e64 v121, null, 0, v121, vcc_lo
	s_delay_alu instid0(VALU_DEP_2)
	v_lshrrev_b32_e32 v126, v127, v126
; %bb.54:
	s_wait_alu 0xfffe
	s_and_not1_saveexec_b32 s0, s0
; %bb.55:
	s_delay_alu instid0(VALU_DEP_1)
	v_bfe_u32 v121, v126, 23, 1
; %bb.56:
	s_wait_alu 0xfffe
	s_or_b32 exec_lo, exec_lo, s0
	v_lshrrev_b32_e32 v126, 20, v126
	s_delay_alu instid0(VALU_DEP_2) | instskip(SKIP_3) | instid1(VALU_DEP_3)
	v_min_i32_e32 v127, 15, v121
	v_cmp_gt_i32_e32 vcc_lo, 16, v121
	v_lshrrev_b32_e32 v122, 24, v122
	s_wait_alu 0xfffd
	v_dual_cndmask_b32 v126, 7, v126 :: v_dual_lshlrev_b32 v127, 3, v127
	s_delay_alu instid0(VALU_DEP_2) | instskip(NEXT) | instid1(VALU_DEP_2)
	v_and_b32_e32 v122, 0x80, v122
	v_and_b32_e32 v127, 0xf8, v127
	s_delay_alu instid0(VALU_DEP_3) | instskip(SKIP_1) | instid1(VALU_DEP_2)
	v_and_b32_e32 v200, 7, v126
	v_or_b32_e32 v121, v121, v126
	v_or3_b32 v122, v122, v127, v200
	s_delay_alu instid0(VALU_DEP_2) | instskip(NEXT) | instid1(VALU_DEP_2)
	v_cmp_ne_u32_e32 vcc_lo, 0, v121
	v_lshlrev_b32_e32 v122, 16, v122
	s_wait_alu 0xfffd
	s_delay_alu instid0(VALU_DEP_1)
	v_cndmask_b32_e32 v121, 0, v122, vcc_lo
.LBB3_57:
	s_wait_alu 0xfffe
	s_or_b32 exec_lo, exec_lo, s4
.LBB3_58:
	s_delay_alu instid0(SALU_CYCLE_1) | instskip(SKIP_2) | instid1(VALU_DEP_2)
	s_or_b32 exec_lo, exec_lo, s2
	v_and_b32_e32 v122, 0x7f800000, v123
	v_wmma_f32_16x16x16_fp8_fp8 v[112:119], v[202:203], v[146:147], v[112:119]
	v_cmp_ne_u32_e32 vcc_lo, 0x7f800000, v122
	v_bfrev_b32_e32 v122, 1
	s_and_saveexec_b32 s2, vcc_lo
	s_cbranch_execz .LBB3_66
; %bb.59:
	v_mov_b32_e32 v122, 0
	s_mov_b32 s4, exec_lo
	v_cmpx_ne_u32_e32 0, v123
	s_cbranch_execz .LBB3_65
; %bb.60:
	v_bfe_u32 v122, v123, 23, 8
	v_and_b32_e32 v126, 0x7fffff, v123
	s_delay_alu instid0(VALU_DEP_2) | instskip(SKIP_1) | instid1(VALU_DEP_3)
	v_sub_nc_u32_e32 v127, 0x78, v122
	v_cmp_gt_u32_e32 vcc_lo, 0x79, v122
	v_or_b32_e32 v200, 0x800000, v126
	s_wait_alu 0xfffd
	s_delay_alu instid0(VALU_DEP_3)
	v_cndmask_b32_e32 v127, 0, v127, vcc_lo
	v_cmp_eq_u32_e32 vcc_lo, 0, v122
	v_add_nc_u32_e32 v122, 0xffffff89, v122
	s_wait_alu 0xfffd
	v_cndmask_b32_e32 v126, v200, v126, vcc_lo
	v_cndmask_b32_e64 v127, v127, 0x77, vcc_lo
	s_delay_alu instid0(VALU_DEP_3) | instskip(NEXT) | instid1(VALU_DEP_2)
	v_cndmask_b32_e64 v122, v122, 0xffffff8a, vcc_lo
	v_lshrrev_b32_e32 v201, v127, v126
	v_lshl_add_u32 v200, 0x100000, v127, -1
	v_lshlrev_b32_e64 v203, v127, 0x80000
	s_delay_alu instid0(VALU_DEP_4) | instskip(NEXT) | instid1(VALU_DEP_4)
	v_add_nc_u32_e32 v127, v127, v122
	v_bfe_u32 v202, v201, 20, 1
	s_delay_alu instid0(VALU_DEP_4) | instskip(NEXT) | instid1(VALU_DEP_2)
	v_and_b32_e32 v126, v200, v126
	v_add_nc_u32_e32 v200, -1, v202
	s_delay_alu instid0(VALU_DEP_2) | instskip(SKIP_1) | instid1(VALU_DEP_1)
	v_cmp_eq_u32_e64 s0, v126, v203
	s_wait_alu 0xf1ff
	v_cndmask_b32_e64 v126, 0, v200, s0
	v_lshrrev_b32_e32 v200, 23, v201
	s_mov_b32 s0, exec_lo
	s_delay_alu instid0(VALU_DEP_2) | instskip(NEXT) | instid1(VALU_DEP_2)
	v_add_nc_u32_e32 v126, v126, v201
	v_xor_b32_e32 v200, 1, v200
	s_delay_alu instid0(VALU_DEP_2) | instskip(NEXT) | instid1(VALU_DEP_1)
	v_and_b32_e32 v122, 0xfffff, v126
	v_add_nc_u32_e32 v126, v122, v201
                                        ; implicit-def: $vgpr122
	s_delay_alu instid0(VALU_DEP_3)
	v_cmpx_ne_u32_e64 v127, v200
	s_wait_alu 0xfffe
	s_xor_b32 s0, exec_lo, s0
; %bb.61:
	s_delay_alu instid0(VALU_DEP_2) | instskip(SKIP_3) | instid1(VALU_DEP_2)
	v_cmp_lt_u32_e32 vcc_lo, 0xffffff, v126
	v_sub_nc_u32_e32 v122, v127, v200
	s_wait_alu 0xfffd
	v_cndmask_b32_e64 v127, 0, 1, vcc_lo
	v_add_co_ci_u32_e64 v122, null, 0, v122, vcc_lo
	s_delay_alu instid0(VALU_DEP_2)
	v_lshrrev_b32_e32 v126, v127, v126
; %bb.62:
	s_wait_alu 0xfffe
	s_and_not1_saveexec_b32 s0, s0
; %bb.63:
	s_delay_alu instid0(VALU_DEP_1)
	v_bfe_u32 v122, v126, 23, 1
; %bb.64:
	s_wait_alu 0xfffe
	s_or_b32 exec_lo, exec_lo, s0
	v_lshrrev_b32_e32 v126, 20, v126
	s_delay_alu instid0(VALU_DEP_2) | instskip(SKIP_3) | instid1(VALU_DEP_2)
	v_cmp_gt_i32_e32 vcc_lo, 16, v122
	v_lshrrev_b32_e32 v123, 24, v123
	v_min_i32_e32 v127, 15, v122
	s_wait_alu 0xfffd
	v_dual_cndmask_b32 v126, 7, v126 :: v_dual_and_b32 v123, 0x80, v123
	s_delay_alu instid0(VALU_DEP_2) | instskip(NEXT) | instid1(VALU_DEP_2)
	v_lshlrev_b32_e32 v127, 3, v127
	v_and_b32_e32 v200, 7, v126
	v_or_b32_e32 v122, v122, v126
	s_delay_alu instid0(VALU_DEP_2) | instskip(NEXT) | instid1(VALU_DEP_2)
	v_or3_b32 v123, v123, v127, v200
	v_cmp_ne_u32_e32 vcc_lo, 0, v122
	s_delay_alu instid0(VALU_DEP_2) | instskip(SKIP_1) | instid1(VALU_DEP_1)
	v_lshlrev_b32_e32 v123, 24, v123
	s_wait_alu 0xfffd
	v_cndmask_b32_e32 v122, 0, v123, vcc_lo
.LBB3_65:
	s_wait_alu 0xfffe
	s_or_b32 exec_lo, exec_lo, s4
.LBB3_66:
	s_delay_alu instid0(SALU_CYCLE_1) | instskip(SKIP_3) | instid1(VALU_DEP_1)
	s_or_b32 exec_lo, exec_lo, s2
	v_or_b32_e32 v120, v120, v125
	s_mov_b32 s0, s14
	s_mov_b32 s2, s5
	v_or3_b32 v120, v121, v120, v122
	buffer_store_b32 v120, v124, s[0:3], null offen offset:4
	s_wait_dscnt 0x0
	s_barrier_signal -1
	s_barrier_wait -1
	ds_store_2addr_stride64_b32 v209, v112, v113 offset1:1
	ds_store_2addr_stride64_b32 v209, v114, v115 offset0:2 offset1:3
	ds_store_2addr_stride64_b32 v209, v116, v117 offset0:4 offset1:5
	;; [unrolled: 1-line block ×3, first 2 shown]
	s_wait_dscnt 0x0
	s_barrier_signal -1
	s_barrier_wait -1
	ds_load_b128 v[112:115], v208
	s_wait_dscnt 0x0
	v_and_b32_e32 v116, 0x7f800000, v112
	s_delay_alu instid0(VALU_DEP_1)
	v_cmp_ne_u32_e32 vcc_lo, 0x7f800000, v116
	v_mov_b32_e32 v116, 0x80
	s_and_saveexec_b32 s2, vcc_lo
	s_cbranch_execz .LBB3_74
; %bb.67:
	v_mov_b32_e32 v116, 0
	s_mov_b32 s4, exec_lo
	v_cmpx_ne_u32_e32 0, v112
	s_cbranch_execz .LBB3_73
; %bb.68:
	v_bfe_u32 v116, v112, 23, 8
	s_delay_alu instid0(VALU_DEP_1) | instskip(SKIP_2) | instid1(VALU_DEP_2)
	v_sub_nc_u32_e32 v118, 0x78, v116
	v_cmp_gt_u32_e32 vcc_lo, 0x79, v116
	s_wait_alu 0xfffd
	v_dual_cndmask_b32 v118, 0, v118 :: v_dual_and_b32 v117, 0x7fffff, v112
	s_delay_alu instid0(VALU_DEP_1) | instskip(SKIP_2) | instid1(VALU_DEP_2)
	v_or_b32_e32 v119, 0x800000, v117
	v_cmp_eq_u32_e32 vcc_lo, 0, v116
	s_wait_alu 0xfffd
	v_dual_cndmask_b32 v117, v119, v117 :: v_dual_add_nc_u32 v116, 0xffffff89, v116
	v_cndmask_b32_e64 v118, v118, 0x77, vcc_lo
	s_delay_alu instid0(VALU_DEP_2) | instskip(NEXT) | instid1(VALU_DEP_2)
	v_cndmask_b32_e64 v116, v116, 0xffffff8a, vcc_lo
	v_lshrrev_b32_e32 v120, v118, v117
	v_lshl_add_u32 v119, 0x100000, v118, -1
	v_lshlrev_b32_e64 v122, v118, 0x80000
	s_delay_alu instid0(VALU_DEP_4) | instskip(NEXT) | instid1(VALU_DEP_4)
	v_add_nc_u32_e32 v118, v118, v116
	v_bfe_u32 v121, v120, 20, 1
	s_delay_alu instid0(VALU_DEP_4) | instskip(NEXT) | instid1(VALU_DEP_2)
	v_and_b32_e32 v117, v119, v117
	v_add_nc_u32_e32 v119, -1, v121
	s_delay_alu instid0(VALU_DEP_2) | instskip(SKIP_1) | instid1(VALU_DEP_1)
	v_cmp_eq_u32_e64 s0, v117, v122
	s_wait_alu 0xf1ff
	v_cndmask_b32_e64 v117, 0, v119, s0
	v_lshrrev_b32_e32 v119, 23, v120
	s_mov_b32 s0, exec_lo
	s_delay_alu instid0(VALU_DEP_2) | instskip(NEXT) | instid1(VALU_DEP_2)
	v_add_nc_u32_e32 v117, v117, v120
	v_xor_b32_e32 v119, 1, v119
	s_delay_alu instid0(VALU_DEP_2) | instskip(NEXT) | instid1(VALU_DEP_1)
	v_and_b32_e32 v116, 0xfffff, v117
	v_add_nc_u32_e32 v117, v116, v120
                                        ; implicit-def: $vgpr116
	s_delay_alu instid0(VALU_DEP_3)
	v_cmpx_ne_u32_e64 v118, v119
	s_wait_alu 0xfffe
	s_xor_b32 s0, exec_lo, s0
; %bb.69:
	s_delay_alu instid0(VALU_DEP_2) | instskip(SKIP_3) | instid1(VALU_DEP_2)
	v_cmp_lt_u32_e32 vcc_lo, 0xffffff, v117
	v_sub_nc_u32_e32 v116, v118, v119
	s_wait_alu 0xfffd
	v_cndmask_b32_e64 v118, 0, 1, vcc_lo
	v_add_co_ci_u32_e64 v116, null, 0, v116, vcc_lo
	s_delay_alu instid0(VALU_DEP_2)
	v_lshrrev_b32_e32 v117, v118, v117
; %bb.70:
	s_wait_alu 0xfffe
	s_and_not1_saveexec_b32 s0, s0
; %bb.71:
	s_delay_alu instid0(VALU_DEP_1)
	v_bfe_u32 v116, v117, 23, 1
; %bb.72:
	s_wait_alu 0xfffe
	s_or_b32 exec_lo, exec_lo, s0
	v_lshrrev_b32_e32 v117, 20, v117
	s_delay_alu instid0(VALU_DEP_2) | instskip(SKIP_3) | instid1(VALU_DEP_2)
	v_cmp_gt_i32_e32 vcc_lo, 16, v116
	v_min_i32_e32 v118, 15, v116
	v_lshrrev_b32_e32 v112, 24, v112
	s_wait_alu 0xfffd
	v_dual_cndmask_b32 v117, 7, v117 :: v_dual_lshlrev_b32 v118, 3, v118
	s_delay_alu instid0(VALU_DEP_2) | instskip(NEXT) | instid1(VALU_DEP_2)
	v_and_b32_e32 v112, 0x80, v112
	v_or_b32_e32 v116, v116, v117
	s_delay_alu instid0(VALU_DEP_3) | instskip(NEXT) | instid1(VALU_DEP_2)
	v_and_b32_e32 v118, 0xf8, v118
	v_cmp_ne_u32_e32 vcc_lo, 0, v116
	v_and_b32_e32 v119, 7, v117
	s_delay_alu instid0(VALU_DEP_1) | instskip(SKIP_1) | instid1(VALU_DEP_1)
	v_or3_b32 v112, v118, v112, v119
	s_wait_alu 0xfffd
	v_cndmask_b32_e32 v116, 0, v112, vcc_lo
.LBB3_73:
	s_wait_alu 0xfffe
	s_or_b32 exec_lo, exec_lo, s4
.LBB3_74:
	s_delay_alu instid0(SALU_CYCLE_1) | instskip(SKIP_3) | instid1(VALU_DEP_2)
	s_or_b32 exec_lo, exec_lo, s2
	v_and_b32_e32 v112, 0x7f800000, v113
	v_mov_b32_e32 v117, 0x8000
	s_mov_b32 s2, exec_lo
	v_cmpx_ne_u32_e32 0x7f800000, v112
	s_cbranch_execz .LBB3_82
; %bb.75:
	v_mov_b32_e32 v117, 0
	s_mov_b32 s4, exec_lo
	v_cmpx_ne_u32_e32 0, v113
	s_cbranch_execz .LBB3_81
; %bb.76:
	v_bfe_u32 v112, v113, 23, 8
	s_delay_alu instid0(VALU_DEP_1) | instskip(SKIP_2) | instid1(VALU_DEP_2)
	v_sub_nc_u32_e32 v118, 0x78, v112
	v_cmp_gt_u32_e32 vcc_lo, 0x79, v112
	s_wait_alu 0xfffd
	v_dual_cndmask_b32 v118, 0, v118 :: v_dual_and_b32 v117, 0x7fffff, v113
	s_delay_alu instid0(VALU_DEP_1) | instskip(SKIP_2) | instid1(VALU_DEP_2)
	v_or_b32_e32 v119, 0x800000, v117
	v_cmp_eq_u32_e32 vcc_lo, 0, v112
	s_wait_alu 0xfffd
	v_dual_cndmask_b32 v117, v119, v117 :: v_dual_add_nc_u32 v112, 0xffffff89, v112
	v_cndmask_b32_e64 v118, v118, 0x77, vcc_lo
	s_delay_alu instid0(VALU_DEP_2) | instskip(NEXT) | instid1(VALU_DEP_2)
	v_cndmask_b32_e64 v112, v112, 0xffffff8a, vcc_lo
	v_lshrrev_b32_e32 v120, v118, v117
	v_lshl_add_u32 v119, 0x100000, v118, -1
	v_lshlrev_b32_e64 v122, v118, 0x80000
	s_delay_alu instid0(VALU_DEP_4) | instskip(NEXT) | instid1(VALU_DEP_4)
	v_add_nc_u32_e32 v118, v118, v112
	v_bfe_u32 v121, v120, 20, 1
	s_delay_alu instid0(VALU_DEP_4) | instskip(NEXT) | instid1(VALU_DEP_2)
	v_and_b32_e32 v117, v119, v117
	v_add_nc_u32_e32 v119, -1, v121
	s_delay_alu instid0(VALU_DEP_2) | instskip(SKIP_1) | instid1(VALU_DEP_1)
	v_cmp_eq_u32_e64 s0, v117, v122
	s_wait_alu 0xf1ff
	v_cndmask_b32_e64 v117, 0, v119, s0
	v_lshrrev_b32_e32 v119, 23, v120
	s_mov_b32 s0, exec_lo
	s_delay_alu instid0(VALU_DEP_2) | instskip(NEXT) | instid1(VALU_DEP_2)
	v_add_nc_u32_e32 v117, v117, v120
	v_xor_b32_e32 v119, 1, v119
	s_delay_alu instid0(VALU_DEP_2) | instskip(NEXT) | instid1(VALU_DEP_1)
	v_and_b32_e32 v112, 0xfffff, v117
	v_add_nc_u32_e32 v117, v112, v120
                                        ; implicit-def: $vgpr112
	s_delay_alu instid0(VALU_DEP_3)
	v_cmpx_ne_u32_e64 v118, v119
	s_wait_alu 0xfffe
	s_xor_b32 s0, exec_lo, s0
; %bb.77:
	s_delay_alu instid0(VALU_DEP_2) | instskip(SKIP_3) | instid1(VALU_DEP_2)
	v_cmp_lt_u32_e32 vcc_lo, 0xffffff, v117
	v_sub_nc_u32_e32 v112, v118, v119
	s_wait_alu 0xfffd
	v_cndmask_b32_e64 v118, 0, 1, vcc_lo
	v_add_co_ci_u32_e64 v112, null, 0, v112, vcc_lo
	s_delay_alu instid0(VALU_DEP_2)
	v_lshrrev_b32_e32 v117, v118, v117
; %bb.78:
	s_wait_alu 0xfffe
	s_and_not1_saveexec_b32 s0, s0
; %bb.79:
	s_delay_alu instid0(VALU_DEP_1)
	v_bfe_u32 v112, v117, 23, 1
; %bb.80:
	s_wait_alu 0xfffe
	s_or_b32 exec_lo, exec_lo, s0
	v_lshrrev_b32_e32 v117, 20, v117
	s_delay_alu instid0(VALU_DEP_2) | instskip(SKIP_3) | instid1(VALU_DEP_2)
	v_cmp_gt_i32_e32 vcc_lo, 16, v112
	v_min_i32_e32 v118, 15, v112
	v_lshrrev_b32_e32 v113, 24, v113
	s_wait_alu 0xfffd
	v_dual_cndmask_b32 v117, 7, v117 :: v_dual_lshlrev_b32 v118, 3, v118
	s_delay_alu instid0(VALU_DEP_2) | instskip(NEXT) | instid1(VALU_DEP_2)
	v_and_b32_e32 v113, 0x80, v113
	v_or_b32_e32 v112, v112, v117
	v_and_b32_e32 v119, 7, v117
	s_delay_alu instid0(VALU_DEP_2) | instskip(SKIP_1) | instid1(VALU_DEP_1)
	v_cmp_ne_u32_e32 vcc_lo, 0, v112
	v_and_b32_e32 v118, 0xf8, v118
	v_or3_b32 v113, v113, v118, v119
	s_delay_alu instid0(VALU_DEP_1) | instskip(SKIP_1) | instid1(VALU_DEP_1)
	v_lshlrev_b32_e32 v113, 8, v113
	s_wait_alu 0xfffd
	v_cndmask_b32_e32 v117, 0, v113, vcc_lo
.LBB3_81:
	s_wait_alu 0xfffe
	s_or_b32 exec_lo, exec_lo, s4
.LBB3_82:
	s_delay_alu instid0(SALU_CYCLE_1) | instskip(SKIP_3) | instid1(VALU_DEP_2)
	s_or_b32 exec_lo, exec_lo, s2
	v_and_b32_e32 v112, 0x7f800000, v114
	v_mov_b32_e32 v118, 0x800000
	s_mov_b32 s2, exec_lo
	v_cmpx_ne_u32_e32 0x7f800000, v112
	s_cbranch_execz .LBB3_90
; %bb.83:
	v_mov_b32_e32 v118, 0
	s_mov_b32 s4, exec_lo
	v_cmpx_ne_u32_e32 0, v114
	s_cbranch_execz .LBB3_89
; %bb.84:
	v_bfe_u32 v112, v114, 23, 8
	v_and_b32_e32 v113, 0x7fffff, v114
	s_delay_alu instid0(VALU_DEP_2) | instskip(SKIP_1) | instid1(VALU_DEP_3)
	v_sub_nc_u32_e32 v118, 0x78, v112
	v_cmp_gt_u32_e32 vcc_lo, 0x79, v112
	v_or_b32_e32 v119, 0x800000, v113
	s_wait_alu 0xfffd
	s_delay_alu instid0(VALU_DEP_3) | instskip(SKIP_3) | instid1(VALU_DEP_3)
	v_cndmask_b32_e32 v118, 0, v118, vcc_lo
	v_cmp_eq_u32_e32 vcc_lo, 0, v112
	s_wait_alu 0xfffd
	v_dual_cndmask_b32 v113, v119, v113 :: v_dual_add_nc_u32 v112, 0xffffff89, v112
	v_cndmask_b32_e64 v118, v118, 0x77, vcc_lo
	s_delay_alu instid0(VALU_DEP_2) | instskip(NEXT) | instid1(VALU_DEP_2)
	v_cndmask_b32_e64 v112, v112, 0xffffff8a, vcc_lo
	v_lshrrev_b32_e32 v120, v118, v113
	v_lshl_add_u32 v119, 0x100000, v118, -1
	v_lshlrev_b32_e64 v122, v118, 0x80000
	s_delay_alu instid0(VALU_DEP_4) | instskip(NEXT) | instid1(VALU_DEP_4)
	v_add_nc_u32_e32 v118, v118, v112
	v_bfe_u32 v121, v120, 20, 1
	s_delay_alu instid0(VALU_DEP_4) | instskip(NEXT) | instid1(VALU_DEP_2)
	v_and_b32_e32 v113, v119, v113
	v_add_nc_u32_e32 v119, -1, v121
	s_delay_alu instid0(VALU_DEP_2) | instskip(SKIP_1) | instid1(VALU_DEP_1)
	v_cmp_eq_u32_e64 s0, v113, v122
	s_wait_alu 0xf1ff
	v_cndmask_b32_e64 v113, 0, v119, s0
	v_lshrrev_b32_e32 v119, 23, v120
	s_mov_b32 s0, exec_lo
	s_delay_alu instid0(VALU_DEP_2) | instskip(NEXT) | instid1(VALU_DEP_2)
	v_add_nc_u32_e32 v113, v113, v120
	v_xor_b32_e32 v119, 1, v119
	s_delay_alu instid0(VALU_DEP_2) | instskip(NEXT) | instid1(VALU_DEP_1)
	v_and_b32_e32 v112, 0xfffff, v113
	v_add_nc_u32_e32 v113, v112, v120
                                        ; implicit-def: $vgpr112
	s_delay_alu instid0(VALU_DEP_3)
	v_cmpx_ne_u32_e64 v118, v119
	s_wait_alu 0xfffe
	s_xor_b32 s0, exec_lo, s0
; %bb.85:
	s_delay_alu instid0(VALU_DEP_2) | instskip(SKIP_3) | instid1(VALU_DEP_2)
	v_cmp_lt_u32_e32 vcc_lo, 0xffffff, v113
	v_sub_nc_u32_e32 v112, v118, v119
	s_wait_alu 0xfffd
	v_cndmask_b32_e64 v118, 0, 1, vcc_lo
	v_add_co_ci_u32_e64 v112, null, 0, v112, vcc_lo
	s_delay_alu instid0(VALU_DEP_2)
	v_lshrrev_b32_e32 v113, v118, v113
; %bb.86:
	s_wait_alu 0xfffe
	s_and_not1_saveexec_b32 s0, s0
; %bb.87:
	s_delay_alu instid0(VALU_DEP_1)
	v_bfe_u32 v112, v113, 23, 1
; %bb.88:
	s_wait_alu 0xfffe
	s_or_b32 exec_lo, exec_lo, s0
	v_lshrrev_b32_e32 v113, 20, v113
	s_delay_alu instid0(VALU_DEP_2) | instskip(SKIP_3) | instid1(VALU_DEP_3)
	v_min_i32_e32 v118, 15, v112
	v_cmp_gt_i32_e32 vcc_lo, 16, v112
	v_lshrrev_b32_e32 v114, 24, v114
	s_wait_alu 0xfffd
	v_dual_cndmask_b32 v113, 7, v113 :: v_dual_lshlrev_b32 v118, 3, v118
	s_delay_alu instid0(VALU_DEP_2) | instskip(NEXT) | instid1(VALU_DEP_2)
	v_and_b32_e32 v114, 0x80, v114
	v_and_b32_e32 v118, 0xf8, v118
	s_delay_alu instid0(VALU_DEP_3) | instskip(SKIP_1) | instid1(VALU_DEP_2)
	v_and_b32_e32 v119, 7, v113
	v_or_b32_e32 v112, v112, v113
	v_or3_b32 v114, v114, v118, v119
	s_delay_alu instid0(VALU_DEP_2) | instskip(NEXT) | instid1(VALU_DEP_2)
	v_cmp_ne_u32_e32 vcc_lo, 0, v112
	v_lshlrev_b32_e32 v113, 16, v114
	s_wait_alu 0xfffd
	s_delay_alu instid0(VALU_DEP_1)
	v_cndmask_b32_e32 v118, 0, v113, vcc_lo
.LBB3_89:
	s_wait_alu 0xfffe
	s_or_b32 exec_lo, exec_lo, s4
.LBB3_90:
	s_delay_alu instid0(SALU_CYCLE_1) | instskip(SKIP_3) | instid1(VALU_DEP_2)
	s_or_b32 exec_lo, exec_lo, s2
	v_and_b32_e32 v112, 0x7f800000, v115
	v_bfrev_b32_e32 v119, 1
	s_mov_b32 s2, exec_lo
	v_cmpx_ne_u32_e32 0x7f800000, v112
	s_cbranch_execz .LBB3_98
; %bb.91:
	v_mov_b32_e32 v119, 0
	s_mov_b32 s4, exec_lo
	v_cmpx_ne_u32_e32 0, v115
	s_cbranch_execz .LBB3_97
; %bb.92:
	v_bfe_u32 v112, v115, 23, 8
	s_delay_alu instid0(VALU_DEP_1) | instskip(SKIP_2) | instid1(VALU_DEP_2)
	v_sub_nc_u32_e32 v114, 0x78, v112
	v_cmp_gt_u32_e32 vcc_lo, 0x79, v112
	s_wait_alu 0xfffd
	v_dual_cndmask_b32 v114, 0, v114 :: v_dual_and_b32 v113, 0x7fffff, v115
	s_delay_alu instid0(VALU_DEP_1) | instskip(SKIP_2) | instid1(VALU_DEP_2)
	v_or_b32_e32 v119, 0x800000, v113
	v_cmp_eq_u32_e32 vcc_lo, 0, v112
	s_wait_alu 0xfffd
	v_dual_cndmask_b32 v113, v119, v113 :: v_dual_add_nc_u32 v112, 0xffffff89, v112
	v_cndmask_b32_e64 v114, v114, 0x77, vcc_lo
	s_delay_alu instid0(VALU_DEP_2) | instskip(NEXT) | instid1(VALU_DEP_2)
	v_cndmask_b32_e64 v112, v112, 0xffffff8a, vcc_lo
	v_lshrrev_b32_e32 v120, v114, v113
	v_lshl_add_u32 v119, 0x100000, v114, -1
	v_lshlrev_b32_e64 v122, v114, 0x80000
	s_delay_alu instid0(VALU_DEP_4) | instskip(NEXT) | instid1(VALU_DEP_4)
	v_add_nc_u32_e32 v114, v114, v112
	v_bfe_u32 v121, v120, 20, 1
	s_delay_alu instid0(VALU_DEP_4) | instskip(NEXT) | instid1(VALU_DEP_2)
	v_and_b32_e32 v113, v119, v113
	v_add_nc_u32_e32 v119, -1, v121
	s_delay_alu instid0(VALU_DEP_2) | instskip(SKIP_1) | instid1(VALU_DEP_1)
	v_cmp_eq_u32_e64 s0, v113, v122
	s_wait_alu 0xf1ff
	v_cndmask_b32_e64 v113, 0, v119, s0
	v_lshrrev_b32_e32 v119, 23, v120
	s_mov_b32 s0, exec_lo
	s_delay_alu instid0(VALU_DEP_2) | instskip(NEXT) | instid1(VALU_DEP_2)
	v_add_nc_u32_e32 v113, v113, v120
	v_xor_b32_e32 v119, 1, v119
	s_delay_alu instid0(VALU_DEP_2) | instskip(NEXT) | instid1(VALU_DEP_1)
	v_and_b32_e32 v112, 0xfffff, v113
	v_add_nc_u32_e32 v113, v112, v120
                                        ; implicit-def: $vgpr112
	s_delay_alu instid0(VALU_DEP_3)
	v_cmpx_ne_u32_e64 v114, v119
	s_wait_alu 0xfffe
	s_xor_b32 s0, exec_lo, s0
; %bb.93:
	s_delay_alu instid0(VALU_DEP_2) | instskip(SKIP_3) | instid1(VALU_DEP_2)
	v_cmp_lt_u32_e32 vcc_lo, 0xffffff, v113
	v_sub_nc_u32_e32 v112, v114, v119
	s_wait_alu 0xfffd
	v_cndmask_b32_e64 v114, 0, 1, vcc_lo
	v_add_co_ci_u32_e64 v112, null, 0, v112, vcc_lo
	s_delay_alu instid0(VALU_DEP_2)
	v_lshrrev_b32_e32 v113, v114, v113
; %bb.94:
	s_wait_alu 0xfffe
	s_and_not1_saveexec_b32 s0, s0
; %bb.95:
	s_delay_alu instid0(VALU_DEP_1)
	v_bfe_u32 v112, v113, 23, 1
; %bb.96:
	s_wait_alu 0xfffe
	s_or_b32 exec_lo, exec_lo, s0
	v_lshrrev_b32_e32 v113, 20, v113
	s_delay_alu instid0(VALU_DEP_2) | instskip(SKIP_3) | instid1(VALU_DEP_2)
	v_cmp_gt_i32_e32 vcc_lo, 16, v112
	v_lshrrev_b32_e32 v114, 24, v115
	v_min_i32_e32 v115, 15, v112
	s_wait_alu 0xfffd
	v_dual_cndmask_b32 v113, 7, v113 :: v_dual_and_b32 v114, 0x80, v114
	s_delay_alu instid0(VALU_DEP_2) | instskip(NEXT) | instid1(VALU_DEP_2)
	v_lshlrev_b32_e32 v115, 3, v115
	v_and_b32_e32 v119, 7, v113
	v_or_b32_e32 v112, v112, v113
	s_delay_alu instid0(VALU_DEP_2) | instskip(NEXT) | instid1(VALU_DEP_2)
	v_or3_b32 v114, v114, v115, v119
	v_cmp_ne_u32_e32 vcc_lo, 0, v112
	s_delay_alu instid0(VALU_DEP_2) | instskip(SKIP_1) | instid1(VALU_DEP_1)
	v_lshlrev_b32_e32 v113, 24, v114
	s_wait_alu 0xfffd
	v_cndmask_b32_e32 v119, 0, v113, vcc_lo
.LBB3_97:
	s_wait_alu 0xfffe
	s_or_b32 exec_lo, exec_lo, s4
.LBB3_98:
	s_delay_alu instid0(SALU_CYCLE_1)
	s_or_b32 exec_lo, exec_lo, s2
	ds_load_b128 v[112:115], v208 offset:16
	v_or_b32_e32 v116, v117, v116
	v_wmma_f32_16x16x16_fp8_fp8 v[104:111], v[196:197], v[148:149], v[104:111]
	s_mov_b32 s0, s14
	s_mov_b32 s2, s5
	s_delay_alu instid0(VALU_DEP_2)
	v_or3_b32 v118, v118, v116, v119
	v_mov_b32_e32 v116, 0x80
	buffer_store_b32 v118, v124, s[0:3], null offen offset:64
	s_mov_b32 s2, exec_lo
	s_wait_dscnt 0x0
	v_and_b32_e32 v117, 0x7f800000, v112
	s_delay_alu instid0(VALU_DEP_1)
	v_cmpx_ne_u32_e32 0x7f800000, v117
	s_cbranch_execz .LBB3_106
; %bb.99:
	v_mov_b32_e32 v116, 0
	s_mov_b32 s4, exec_lo
	v_cmpx_ne_u32_e32 0, v112
	s_cbranch_execz .LBB3_105
; %bb.100:
	v_bfe_u32 v116, v112, 23, 8
	s_delay_alu instid0(VALU_DEP_1) | instskip(SKIP_2) | instid1(VALU_DEP_2)
	v_sub_nc_u32_e32 v118, 0x78, v116
	v_cmp_gt_u32_e32 vcc_lo, 0x79, v116
	s_wait_alu 0xfffd
	v_dual_cndmask_b32 v118, 0, v118 :: v_dual_and_b32 v117, 0x7fffff, v112
	s_delay_alu instid0(VALU_DEP_1) | instskip(SKIP_2) | instid1(VALU_DEP_2)
	v_or_b32_e32 v119, 0x800000, v117
	v_cmp_eq_u32_e32 vcc_lo, 0, v116
	s_wait_alu 0xfffd
	v_dual_cndmask_b32 v117, v119, v117 :: v_dual_add_nc_u32 v116, 0xffffff89, v116
	v_cndmask_b32_e64 v118, v118, 0x77, vcc_lo
	s_delay_alu instid0(VALU_DEP_2) | instskip(NEXT) | instid1(VALU_DEP_2)
	v_cndmask_b32_e64 v116, v116, 0xffffff8a, vcc_lo
	v_lshrrev_b32_e32 v120, v118, v117
	v_lshl_add_u32 v119, 0x100000, v118, -1
	v_lshlrev_b32_e64 v122, v118, 0x80000
	s_delay_alu instid0(VALU_DEP_4) | instskip(NEXT) | instid1(VALU_DEP_4)
	v_add_nc_u32_e32 v118, v118, v116
	v_bfe_u32 v121, v120, 20, 1
	s_delay_alu instid0(VALU_DEP_4) | instskip(NEXT) | instid1(VALU_DEP_2)
	v_and_b32_e32 v117, v119, v117
	v_add_nc_u32_e32 v119, -1, v121
	s_delay_alu instid0(VALU_DEP_2) | instskip(SKIP_1) | instid1(VALU_DEP_1)
	v_cmp_eq_u32_e64 s0, v117, v122
	s_wait_alu 0xf1ff
	v_cndmask_b32_e64 v117, 0, v119, s0
	v_lshrrev_b32_e32 v119, 23, v120
	s_mov_b32 s0, exec_lo
	s_delay_alu instid0(VALU_DEP_2) | instskip(NEXT) | instid1(VALU_DEP_2)
	v_add_nc_u32_e32 v117, v117, v120
	v_xor_b32_e32 v119, 1, v119
	s_delay_alu instid0(VALU_DEP_2) | instskip(NEXT) | instid1(VALU_DEP_1)
	v_and_b32_e32 v116, 0xfffff, v117
	v_add_nc_u32_e32 v117, v116, v120
                                        ; implicit-def: $vgpr116
	s_delay_alu instid0(VALU_DEP_3)
	v_cmpx_ne_u32_e64 v118, v119
	s_wait_alu 0xfffe
	s_xor_b32 s0, exec_lo, s0
; %bb.101:
	s_delay_alu instid0(VALU_DEP_2) | instskip(SKIP_3) | instid1(VALU_DEP_2)
	v_cmp_lt_u32_e32 vcc_lo, 0xffffff, v117
	v_sub_nc_u32_e32 v116, v118, v119
	s_wait_alu 0xfffd
	v_cndmask_b32_e64 v118, 0, 1, vcc_lo
	v_add_co_ci_u32_e64 v116, null, 0, v116, vcc_lo
	s_delay_alu instid0(VALU_DEP_2)
	v_lshrrev_b32_e32 v117, v118, v117
; %bb.102:
	s_wait_alu 0xfffe
	s_and_not1_saveexec_b32 s0, s0
; %bb.103:
	s_delay_alu instid0(VALU_DEP_1)
	v_bfe_u32 v116, v117, 23, 1
; %bb.104:
	s_wait_alu 0xfffe
	s_or_b32 exec_lo, exec_lo, s0
	v_lshrrev_b32_e32 v117, 20, v117
	s_delay_alu instid0(VALU_DEP_2) | instskip(SKIP_3) | instid1(VALU_DEP_2)
	v_cmp_gt_i32_e32 vcc_lo, 16, v116
	v_min_i32_e32 v118, 15, v116
	v_lshrrev_b32_e32 v112, 24, v112
	s_wait_alu 0xfffd
	v_dual_cndmask_b32 v117, 7, v117 :: v_dual_lshlrev_b32 v118, 3, v118
	s_delay_alu instid0(VALU_DEP_2) | instskip(NEXT) | instid1(VALU_DEP_2)
	v_and_b32_e32 v112, 0x80, v112
	v_or_b32_e32 v116, v116, v117
	s_delay_alu instid0(VALU_DEP_3) | instskip(NEXT) | instid1(VALU_DEP_2)
	v_and_b32_e32 v118, 0xf8, v118
	v_cmp_ne_u32_e32 vcc_lo, 0, v116
	v_and_b32_e32 v119, 7, v117
	s_delay_alu instid0(VALU_DEP_1) | instskip(SKIP_1) | instid1(VALU_DEP_1)
	v_or3_b32 v112, v118, v112, v119
	s_wait_alu 0xfffd
	v_cndmask_b32_e32 v116, 0, v112, vcc_lo
.LBB3_105:
	s_wait_alu 0xfffe
	s_or_b32 exec_lo, exec_lo, s4
.LBB3_106:
	s_delay_alu instid0(SALU_CYCLE_1) | instskip(SKIP_2) | instid1(VALU_DEP_2)
	s_or_b32 exec_lo, exec_lo, s2
	v_and_b32_e32 v112, 0x7f800000, v113
	v_wmma_f32_16x16x16_fp8_fp8 v[104:111], v[198:199], v[150:151], v[104:111]
	v_cmp_ne_u32_e32 vcc_lo, 0x7f800000, v112
	v_mov_b32_e32 v112, 0x8000
	s_and_saveexec_b32 s2, vcc_lo
	s_cbranch_execz .LBB3_114
; %bb.107:
	v_mov_b32_e32 v112, 0
	s_mov_b32 s4, exec_lo
	v_cmpx_ne_u32_e32 0, v113
	s_cbranch_execz .LBB3_113
; %bb.108:
	v_bfe_u32 v112, v113, 23, 8
	s_delay_alu instid0(VALU_DEP_1) | instskip(SKIP_2) | instid1(VALU_DEP_2)
	v_sub_nc_u32_e32 v118, 0x78, v112
	v_cmp_gt_u32_e32 vcc_lo, 0x79, v112
	s_wait_alu 0xfffd
	v_dual_cndmask_b32 v118, 0, v118 :: v_dual_and_b32 v117, 0x7fffff, v113
	s_delay_alu instid0(VALU_DEP_1) | instskip(SKIP_2) | instid1(VALU_DEP_2)
	v_or_b32_e32 v119, 0x800000, v117
	v_cmp_eq_u32_e32 vcc_lo, 0, v112
	s_wait_alu 0xfffd
	v_dual_cndmask_b32 v117, v119, v117 :: v_dual_add_nc_u32 v112, 0xffffff89, v112
	v_cndmask_b32_e64 v118, v118, 0x77, vcc_lo
	s_delay_alu instid0(VALU_DEP_2) | instskip(NEXT) | instid1(VALU_DEP_2)
	v_cndmask_b32_e64 v112, v112, 0xffffff8a, vcc_lo
	v_lshrrev_b32_e32 v120, v118, v117
	v_lshl_add_u32 v119, 0x100000, v118, -1
	v_lshlrev_b32_e64 v122, v118, 0x80000
	s_delay_alu instid0(VALU_DEP_4) | instskip(NEXT) | instid1(VALU_DEP_4)
	v_add_nc_u32_e32 v118, v118, v112
	v_bfe_u32 v121, v120, 20, 1
	s_delay_alu instid0(VALU_DEP_4) | instskip(NEXT) | instid1(VALU_DEP_2)
	v_and_b32_e32 v117, v119, v117
	v_add_nc_u32_e32 v119, -1, v121
	s_delay_alu instid0(VALU_DEP_2) | instskip(SKIP_1) | instid1(VALU_DEP_1)
	v_cmp_eq_u32_e64 s0, v117, v122
	s_wait_alu 0xf1ff
	v_cndmask_b32_e64 v117, 0, v119, s0
	v_lshrrev_b32_e32 v119, 23, v120
	s_mov_b32 s0, exec_lo
	s_delay_alu instid0(VALU_DEP_2) | instskip(NEXT) | instid1(VALU_DEP_2)
	v_add_nc_u32_e32 v117, v117, v120
	v_xor_b32_e32 v119, 1, v119
	s_delay_alu instid0(VALU_DEP_2) | instskip(NEXT) | instid1(VALU_DEP_1)
	v_and_b32_e32 v112, 0xfffff, v117
	v_add_nc_u32_e32 v117, v112, v120
                                        ; implicit-def: $vgpr112
	s_delay_alu instid0(VALU_DEP_3)
	v_cmpx_ne_u32_e64 v118, v119
	s_wait_alu 0xfffe
	s_xor_b32 s0, exec_lo, s0
; %bb.109:
	s_delay_alu instid0(VALU_DEP_2) | instskip(SKIP_3) | instid1(VALU_DEP_2)
	v_cmp_lt_u32_e32 vcc_lo, 0xffffff, v117
	v_sub_nc_u32_e32 v112, v118, v119
	s_wait_alu 0xfffd
	v_cndmask_b32_e64 v118, 0, 1, vcc_lo
	v_add_co_ci_u32_e64 v112, null, 0, v112, vcc_lo
	s_delay_alu instid0(VALU_DEP_2)
	v_lshrrev_b32_e32 v117, v118, v117
; %bb.110:
	s_wait_alu 0xfffe
	s_and_not1_saveexec_b32 s0, s0
; %bb.111:
	s_delay_alu instid0(VALU_DEP_1)
	v_bfe_u32 v112, v117, 23, 1
; %bb.112:
	s_wait_alu 0xfffe
	s_or_b32 exec_lo, exec_lo, s0
	v_lshrrev_b32_e32 v117, 20, v117
	s_delay_alu instid0(VALU_DEP_2) | instskip(SKIP_3) | instid1(VALU_DEP_3)
	v_min_i32_e32 v118, 15, v112
	v_cmp_gt_i32_e32 vcc_lo, 16, v112
	v_lshrrev_b32_e32 v113, 24, v113
	s_wait_alu 0xfffd
	v_dual_cndmask_b32 v117, 7, v117 :: v_dual_lshlrev_b32 v118, 3, v118
	s_delay_alu instid0(VALU_DEP_2) | instskip(NEXT) | instid1(VALU_DEP_2)
	v_and_b32_e32 v113, 0x80, v113
	v_and_b32_e32 v118, 0xf8, v118
	s_delay_alu instid0(VALU_DEP_3) | instskip(SKIP_1) | instid1(VALU_DEP_2)
	v_and_b32_e32 v119, 7, v117
	v_or_b32_e32 v112, v112, v117
	v_or3_b32 v113, v113, v118, v119
	s_delay_alu instid0(VALU_DEP_2) | instskip(NEXT) | instid1(VALU_DEP_2)
	v_cmp_ne_u32_e32 vcc_lo, 0, v112
	v_lshlrev_b32_e32 v113, 8, v113
	s_wait_alu 0xfffd
	s_delay_alu instid0(VALU_DEP_1)
	v_cndmask_b32_e32 v112, 0, v113, vcc_lo
.LBB3_113:
	s_wait_alu 0xfffe
	s_or_b32 exec_lo, exec_lo, s4
.LBB3_114:
	s_delay_alu instid0(SALU_CYCLE_1) | instskip(SKIP_2) | instid1(VALU_DEP_2)
	s_or_b32 exec_lo, exec_lo, s2
	v_and_b32_e32 v113, 0x7f800000, v114
	v_wmma_f32_16x16x16_fp8_fp8 v[104:111], v[192:193], v[144:145], v[104:111]
	v_cmp_ne_u32_e32 vcc_lo, 0x7f800000, v113
	v_mov_b32_e32 v113, 0x800000
	s_and_saveexec_b32 s2, vcc_lo
	s_cbranch_execz .LBB3_122
; %bb.115:
	v_mov_b32_e32 v113, 0
	s_mov_b32 s4, exec_lo
	v_cmpx_ne_u32_e32 0, v114
	s_cbranch_execz .LBB3_121
; %bb.116:
	v_bfe_u32 v113, v114, 23, 8
	v_and_b32_e32 v117, 0x7fffff, v114
	s_delay_alu instid0(VALU_DEP_2) | instskip(SKIP_1) | instid1(VALU_DEP_3)
	v_sub_nc_u32_e32 v118, 0x78, v113
	v_cmp_gt_u32_e32 vcc_lo, 0x79, v113
	v_or_b32_e32 v119, 0x800000, v117
	s_wait_alu 0xfffd
	s_delay_alu instid0(VALU_DEP_3)
	v_cndmask_b32_e32 v118, 0, v118, vcc_lo
	v_cmp_eq_u32_e32 vcc_lo, 0, v113
	v_add_nc_u32_e32 v113, 0xffffff89, v113
	s_wait_alu 0xfffd
	v_cndmask_b32_e32 v117, v119, v117, vcc_lo
	v_cndmask_b32_e64 v118, v118, 0x77, vcc_lo
	s_delay_alu instid0(VALU_DEP_3) | instskip(NEXT) | instid1(VALU_DEP_2)
	v_cndmask_b32_e64 v113, v113, 0xffffff8a, vcc_lo
	v_lshrrev_b32_e32 v120, v118, v117
	v_lshl_add_u32 v119, 0x100000, v118, -1
	v_lshlrev_b32_e64 v122, v118, 0x80000
	s_delay_alu instid0(VALU_DEP_4) | instskip(NEXT) | instid1(VALU_DEP_4)
	v_add_nc_u32_e32 v118, v118, v113
	v_bfe_u32 v121, v120, 20, 1
	s_delay_alu instid0(VALU_DEP_4) | instskip(NEXT) | instid1(VALU_DEP_2)
	v_and_b32_e32 v117, v119, v117
	v_add_nc_u32_e32 v119, -1, v121
	s_delay_alu instid0(VALU_DEP_2) | instskip(SKIP_1) | instid1(VALU_DEP_1)
	v_cmp_eq_u32_e64 s0, v117, v122
	s_wait_alu 0xf1ff
	v_cndmask_b32_e64 v117, 0, v119, s0
	v_lshrrev_b32_e32 v119, 23, v120
	s_mov_b32 s0, exec_lo
	s_delay_alu instid0(VALU_DEP_2) | instskip(NEXT) | instid1(VALU_DEP_2)
	v_add_nc_u32_e32 v117, v117, v120
	v_xor_b32_e32 v119, 1, v119
	s_delay_alu instid0(VALU_DEP_2) | instskip(NEXT) | instid1(VALU_DEP_1)
	v_and_b32_e32 v113, 0xfffff, v117
	v_add_nc_u32_e32 v117, v113, v120
                                        ; implicit-def: $vgpr113
	s_delay_alu instid0(VALU_DEP_3)
	v_cmpx_ne_u32_e64 v118, v119
	s_wait_alu 0xfffe
	s_xor_b32 s0, exec_lo, s0
; %bb.117:
	s_delay_alu instid0(VALU_DEP_2) | instskip(SKIP_3) | instid1(VALU_DEP_2)
	v_cmp_lt_u32_e32 vcc_lo, 0xffffff, v117
	v_sub_nc_u32_e32 v113, v118, v119
	s_wait_alu 0xfffd
	v_cndmask_b32_e64 v118, 0, 1, vcc_lo
	v_add_co_ci_u32_e64 v113, null, 0, v113, vcc_lo
	s_delay_alu instid0(VALU_DEP_2)
	v_lshrrev_b32_e32 v117, v118, v117
; %bb.118:
	s_wait_alu 0xfffe
	s_and_not1_saveexec_b32 s0, s0
; %bb.119:
	s_delay_alu instid0(VALU_DEP_1)
	v_bfe_u32 v113, v117, 23, 1
; %bb.120:
	s_wait_alu 0xfffe
	s_or_b32 exec_lo, exec_lo, s0
	v_lshrrev_b32_e32 v117, 20, v117
	s_delay_alu instid0(VALU_DEP_2) | instskip(SKIP_3) | instid1(VALU_DEP_3)
	v_min_i32_e32 v118, 15, v113
	v_cmp_gt_i32_e32 vcc_lo, 16, v113
	v_lshrrev_b32_e32 v114, 24, v114
	s_wait_alu 0xfffd
	v_dual_cndmask_b32 v117, 7, v117 :: v_dual_lshlrev_b32 v118, 3, v118
	s_delay_alu instid0(VALU_DEP_2) | instskip(NEXT) | instid1(VALU_DEP_2)
	v_and_b32_e32 v114, 0x80, v114
	v_and_b32_e32 v118, 0xf8, v118
	s_delay_alu instid0(VALU_DEP_3) | instskip(SKIP_1) | instid1(VALU_DEP_2)
	v_and_b32_e32 v119, 7, v117
	v_or_b32_e32 v113, v113, v117
	v_or3_b32 v114, v114, v118, v119
	s_delay_alu instid0(VALU_DEP_2) | instskip(NEXT) | instid1(VALU_DEP_2)
	v_cmp_ne_u32_e32 vcc_lo, 0, v113
	v_lshlrev_b32_e32 v114, 16, v114
	s_wait_alu 0xfffd
	s_delay_alu instid0(VALU_DEP_1)
	v_cndmask_b32_e32 v113, 0, v114, vcc_lo
.LBB3_121:
	s_wait_alu 0xfffe
	s_or_b32 exec_lo, exec_lo, s4
.LBB3_122:
	s_delay_alu instid0(SALU_CYCLE_1) | instskip(SKIP_2) | instid1(VALU_DEP_2)
	s_or_b32 exec_lo, exec_lo, s2
	v_and_b32_e32 v114, 0x7f800000, v115
	v_wmma_f32_16x16x16_fp8_fp8 v[104:111], v[194:195], v[146:147], v[104:111]
	v_cmp_ne_u32_e32 vcc_lo, 0x7f800000, v114
	v_bfrev_b32_e32 v114, 1
	s_and_saveexec_b32 s2, vcc_lo
	s_cbranch_execz .LBB3_130
; %bb.123:
	v_mov_b32_e32 v114, 0
	s_mov_b32 s4, exec_lo
	v_cmpx_ne_u32_e32 0, v115
	s_cbranch_execz .LBB3_129
; %bb.124:
	v_bfe_u32 v114, v115, 23, 8
	s_delay_alu instid0(VALU_DEP_1) | instskip(SKIP_2) | instid1(VALU_DEP_2)
	v_sub_nc_u32_e32 v118, 0x78, v114
	v_cmp_gt_u32_e32 vcc_lo, 0x79, v114
	s_wait_alu 0xfffd
	v_dual_cndmask_b32 v118, 0, v118 :: v_dual_and_b32 v117, 0x7fffff, v115
	s_delay_alu instid0(VALU_DEP_1) | instskip(SKIP_2) | instid1(VALU_DEP_2)
	v_or_b32_e32 v119, 0x800000, v117
	v_cmp_eq_u32_e32 vcc_lo, 0, v114
	s_wait_alu 0xfffd
	v_dual_cndmask_b32 v117, v119, v117 :: v_dual_add_nc_u32 v114, 0xffffff89, v114
	v_cndmask_b32_e64 v118, v118, 0x77, vcc_lo
	s_delay_alu instid0(VALU_DEP_2) | instskip(NEXT) | instid1(VALU_DEP_2)
	v_cndmask_b32_e64 v114, v114, 0xffffff8a, vcc_lo
	v_lshrrev_b32_e32 v120, v118, v117
	v_lshl_add_u32 v119, 0x100000, v118, -1
	v_lshlrev_b32_e64 v122, v118, 0x80000
	s_delay_alu instid0(VALU_DEP_4) | instskip(NEXT) | instid1(VALU_DEP_4)
	v_add_nc_u32_e32 v118, v118, v114
	v_bfe_u32 v121, v120, 20, 1
	s_delay_alu instid0(VALU_DEP_4) | instskip(NEXT) | instid1(VALU_DEP_2)
	v_and_b32_e32 v117, v119, v117
	v_add_nc_u32_e32 v119, -1, v121
	s_delay_alu instid0(VALU_DEP_2) | instskip(SKIP_1) | instid1(VALU_DEP_1)
	v_cmp_eq_u32_e64 s0, v117, v122
	s_wait_alu 0xf1ff
	v_cndmask_b32_e64 v117, 0, v119, s0
	v_lshrrev_b32_e32 v119, 23, v120
	s_mov_b32 s0, exec_lo
	s_delay_alu instid0(VALU_DEP_2) | instskip(NEXT) | instid1(VALU_DEP_2)
	v_add_nc_u32_e32 v117, v117, v120
	v_xor_b32_e32 v119, 1, v119
	s_delay_alu instid0(VALU_DEP_2) | instskip(NEXT) | instid1(VALU_DEP_1)
	v_and_b32_e32 v114, 0xfffff, v117
	v_add_nc_u32_e32 v117, v114, v120
                                        ; implicit-def: $vgpr114
	s_delay_alu instid0(VALU_DEP_3)
	v_cmpx_ne_u32_e64 v118, v119
	s_wait_alu 0xfffe
	s_xor_b32 s0, exec_lo, s0
; %bb.125:
	s_delay_alu instid0(VALU_DEP_2) | instskip(SKIP_3) | instid1(VALU_DEP_2)
	v_cmp_lt_u32_e32 vcc_lo, 0xffffff, v117
	v_sub_nc_u32_e32 v114, v118, v119
	s_wait_alu 0xfffd
	v_cndmask_b32_e64 v118, 0, 1, vcc_lo
	v_add_co_ci_u32_e64 v114, null, 0, v114, vcc_lo
	s_delay_alu instid0(VALU_DEP_2)
	v_lshrrev_b32_e32 v117, v118, v117
; %bb.126:
	s_wait_alu 0xfffe
	s_and_not1_saveexec_b32 s0, s0
; %bb.127:
	s_delay_alu instid0(VALU_DEP_1)
	v_bfe_u32 v114, v117, 23, 1
; %bb.128:
	s_wait_alu 0xfffe
	s_or_b32 exec_lo, exec_lo, s0
	v_lshrrev_b32_e32 v117, 20, v117
	s_delay_alu instid0(VALU_DEP_2) | instskip(SKIP_3) | instid1(VALU_DEP_2)
	v_cmp_gt_i32_e32 vcc_lo, 16, v114
	v_min_i32_e32 v118, 15, v114
	v_lshrrev_b32_e32 v115, 24, v115
	s_wait_alu 0xfffd
	v_dual_cndmask_b32 v117, 7, v117 :: v_dual_lshlrev_b32 v118, 3, v118
	s_delay_alu instid0(VALU_DEP_2) | instskip(NEXT) | instid1(VALU_DEP_2)
	v_and_b32_e32 v115, 0x80, v115
	v_or_b32_e32 v114, v114, v117
	s_delay_alu instid0(VALU_DEP_1) | instskip(SKIP_1) | instid1(VALU_DEP_1)
	v_cmp_ne_u32_e32 vcc_lo, 0, v114
	v_and_b32_e32 v119, 7, v117
	v_or3_b32 v115, v115, v118, v119
	s_delay_alu instid0(VALU_DEP_1) | instskip(SKIP_1) | instid1(VALU_DEP_1)
	v_lshlrev_b32_e32 v115, 24, v115
	s_wait_alu 0xfffd
	v_cndmask_b32_e32 v114, 0, v115, vcc_lo
.LBB3_129:
	s_wait_alu 0xfffe
	s_or_b32 exec_lo, exec_lo, s4
.LBB3_130:
	s_delay_alu instid0(SALU_CYCLE_1) | instskip(SKIP_3) | instid1(VALU_DEP_1)
	s_or_b32 exec_lo, exec_lo, s2
	v_or_b32_e32 v112, v112, v116
	s_mov_b32 s0, s14
	s_mov_b32 s2, s5
	v_or3_b32 v112, v113, v112, v114
	buffer_store_b32 v112, v124, s[0:3], null offen offset:68
	s_wait_dscnt 0x0
	s_barrier_signal -1
	s_barrier_wait -1
	ds_store_2addr_stride64_b32 v209, v104, v105 offset1:1
	ds_store_2addr_stride64_b32 v209, v106, v107 offset0:2 offset1:3
	ds_store_2addr_stride64_b32 v209, v108, v109 offset0:4 offset1:5
	;; [unrolled: 1-line block ×3, first 2 shown]
	s_wait_dscnt 0x0
	s_barrier_signal -1
	s_barrier_wait -1
	ds_load_b128 v[104:107], v208
	s_wait_dscnt 0x0
	v_and_b32_e32 v108, 0x7f800000, v104
	s_delay_alu instid0(VALU_DEP_1)
	v_cmp_ne_u32_e32 vcc_lo, 0x7f800000, v108
	v_mov_b32_e32 v108, 0x80
	s_and_saveexec_b32 s2, vcc_lo
	s_cbranch_execz .LBB3_138
; %bb.131:
	v_mov_b32_e32 v108, 0
	s_mov_b32 s4, exec_lo
	v_cmpx_ne_u32_e32 0, v104
	s_cbranch_execz .LBB3_137
; %bb.132:
	v_bfe_u32 v108, v104, 23, 8
	s_delay_alu instid0(VALU_DEP_1) | instskip(SKIP_2) | instid1(VALU_DEP_2)
	v_sub_nc_u32_e32 v110, 0x78, v108
	v_cmp_gt_u32_e32 vcc_lo, 0x79, v108
	s_wait_alu 0xfffd
	v_dual_cndmask_b32 v110, 0, v110 :: v_dual_and_b32 v109, 0x7fffff, v104
	s_delay_alu instid0(VALU_DEP_1) | instskip(SKIP_2) | instid1(VALU_DEP_2)
	v_or_b32_e32 v111, 0x800000, v109
	v_cmp_eq_u32_e32 vcc_lo, 0, v108
	s_wait_alu 0xfffd
	v_dual_cndmask_b32 v109, v111, v109 :: v_dual_add_nc_u32 v108, 0xffffff89, v108
	v_cndmask_b32_e64 v110, v110, 0x77, vcc_lo
	s_delay_alu instid0(VALU_DEP_2) | instskip(NEXT) | instid1(VALU_DEP_2)
	v_cndmask_b32_e64 v108, v108, 0xffffff8a, vcc_lo
	v_lshrrev_b32_e32 v112, v110, v109
	v_lshl_add_u32 v111, 0x100000, v110, -1
	v_lshlrev_b32_e64 v114, v110, 0x80000
	s_delay_alu instid0(VALU_DEP_4) | instskip(NEXT) | instid1(VALU_DEP_4)
	v_add_nc_u32_e32 v110, v110, v108
	v_bfe_u32 v113, v112, 20, 1
	s_delay_alu instid0(VALU_DEP_4) | instskip(NEXT) | instid1(VALU_DEP_2)
	v_and_b32_e32 v109, v111, v109
	v_add_nc_u32_e32 v111, -1, v113
	s_delay_alu instid0(VALU_DEP_2) | instskip(SKIP_1) | instid1(VALU_DEP_1)
	v_cmp_eq_u32_e64 s0, v109, v114
	s_wait_alu 0xf1ff
	v_cndmask_b32_e64 v109, 0, v111, s0
	v_lshrrev_b32_e32 v111, 23, v112
	s_mov_b32 s0, exec_lo
	s_delay_alu instid0(VALU_DEP_2) | instskip(NEXT) | instid1(VALU_DEP_2)
	v_add_nc_u32_e32 v109, v109, v112
	v_xor_b32_e32 v111, 1, v111
	s_delay_alu instid0(VALU_DEP_2) | instskip(NEXT) | instid1(VALU_DEP_1)
	v_and_b32_e32 v108, 0xfffff, v109
	v_add_nc_u32_e32 v109, v108, v112
                                        ; implicit-def: $vgpr108
	s_delay_alu instid0(VALU_DEP_3)
	v_cmpx_ne_u32_e64 v110, v111
	s_wait_alu 0xfffe
	s_xor_b32 s0, exec_lo, s0
; %bb.133:
	s_delay_alu instid0(VALU_DEP_2) | instskip(SKIP_3) | instid1(VALU_DEP_2)
	v_cmp_lt_u32_e32 vcc_lo, 0xffffff, v109
	v_sub_nc_u32_e32 v108, v110, v111
	s_wait_alu 0xfffd
	v_cndmask_b32_e64 v110, 0, 1, vcc_lo
	v_add_co_ci_u32_e64 v108, null, 0, v108, vcc_lo
	s_delay_alu instid0(VALU_DEP_2)
	v_lshrrev_b32_e32 v109, v110, v109
; %bb.134:
	s_wait_alu 0xfffe
	s_and_not1_saveexec_b32 s0, s0
; %bb.135:
	s_delay_alu instid0(VALU_DEP_1)
	v_bfe_u32 v108, v109, 23, 1
; %bb.136:
	s_wait_alu 0xfffe
	s_or_b32 exec_lo, exec_lo, s0
	v_lshrrev_b32_e32 v109, 20, v109
	s_delay_alu instid0(VALU_DEP_2) | instskip(SKIP_3) | instid1(VALU_DEP_2)
	v_cmp_gt_i32_e32 vcc_lo, 16, v108
	v_min_i32_e32 v110, 15, v108
	v_lshrrev_b32_e32 v104, 24, v104
	s_wait_alu 0xfffd
	v_dual_cndmask_b32 v109, 7, v109 :: v_dual_lshlrev_b32 v110, 3, v110
	s_delay_alu instid0(VALU_DEP_2) | instskip(NEXT) | instid1(VALU_DEP_2)
	v_and_b32_e32 v104, 0x80, v104
	v_or_b32_e32 v108, v108, v109
	s_delay_alu instid0(VALU_DEP_3) | instskip(NEXT) | instid1(VALU_DEP_2)
	v_and_b32_e32 v110, 0xf8, v110
	v_cmp_ne_u32_e32 vcc_lo, 0, v108
	v_and_b32_e32 v111, 7, v109
	s_delay_alu instid0(VALU_DEP_1) | instskip(SKIP_1) | instid1(VALU_DEP_1)
	v_or3_b32 v104, v110, v104, v111
	s_wait_alu 0xfffd
	v_cndmask_b32_e32 v108, 0, v104, vcc_lo
.LBB3_137:
	s_wait_alu 0xfffe
	s_or_b32 exec_lo, exec_lo, s4
.LBB3_138:
	s_delay_alu instid0(SALU_CYCLE_1) | instskip(SKIP_3) | instid1(VALU_DEP_2)
	s_or_b32 exec_lo, exec_lo, s2
	v_and_b32_e32 v104, 0x7f800000, v105
	v_mov_b32_e32 v109, 0x8000
	s_mov_b32 s2, exec_lo
	v_cmpx_ne_u32_e32 0x7f800000, v104
	s_cbranch_execz .LBB3_146
; %bb.139:
	v_mov_b32_e32 v109, 0
	s_mov_b32 s4, exec_lo
	v_cmpx_ne_u32_e32 0, v105
	s_cbranch_execz .LBB3_145
; %bb.140:
	v_bfe_u32 v104, v105, 23, 8
	s_delay_alu instid0(VALU_DEP_1) | instskip(SKIP_2) | instid1(VALU_DEP_2)
	v_sub_nc_u32_e32 v110, 0x78, v104
	v_cmp_gt_u32_e32 vcc_lo, 0x79, v104
	s_wait_alu 0xfffd
	v_dual_cndmask_b32 v110, 0, v110 :: v_dual_and_b32 v109, 0x7fffff, v105
	s_delay_alu instid0(VALU_DEP_1) | instskip(SKIP_2) | instid1(VALU_DEP_2)
	v_or_b32_e32 v111, 0x800000, v109
	v_cmp_eq_u32_e32 vcc_lo, 0, v104
	s_wait_alu 0xfffd
	v_dual_cndmask_b32 v109, v111, v109 :: v_dual_add_nc_u32 v104, 0xffffff89, v104
	v_cndmask_b32_e64 v110, v110, 0x77, vcc_lo
	s_delay_alu instid0(VALU_DEP_2) | instskip(NEXT) | instid1(VALU_DEP_2)
	v_cndmask_b32_e64 v104, v104, 0xffffff8a, vcc_lo
	v_lshrrev_b32_e32 v112, v110, v109
	v_lshl_add_u32 v111, 0x100000, v110, -1
	v_lshlrev_b32_e64 v114, v110, 0x80000
	s_delay_alu instid0(VALU_DEP_4) | instskip(NEXT) | instid1(VALU_DEP_4)
	v_add_nc_u32_e32 v110, v110, v104
	v_bfe_u32 v113, v112, 20, 1
	s_delay_alu instid0(VALU_DEP_4) | instskip(NEXT) | instid1(VALU_DEP_2)
	v_and_b32_e32 v109, v111, v109
	v_add_nc_u32_e32 v111, -1, v113
	s_delay_alu instid0(VALU_DEP_2) | instskip(SKIP_1) | instid1(VALU_DEP_1)
	v_cmp_eq_u32_e64 s0, v109, v114
	s_wait_alu 0xf1ff
	v_cndmask_b32_e64 v109, 0, v111, s0
	v_lshrrev_b32_e32 v111, 23, v112
	s_mov_b32 s0, exec_lo
	s_delay_alu instid0(VALU_DEP_2) | instskip(NEXT) | instid1(VALU_DEP_2)
	v_add_nc_u32_e32 v109, v109, v112
	v_xor_b32_e32 v111, 1, v111
	s_delay_alu instid0(VALU_DEP_2) | instskip(NEXT) | instid1(VALU_DEP_1)
	v_and_b32_e32 v104, 0xfffff, v109
	v_add_nc_u32_e32 v109, v104, v112
                                        ; implicit-def: $vgpr104
	s_delay_alu instid0(VALU_DEP_3)
	v_cmpx_ne_u32_e64 v110, v111
	s_wait_alu 0xfffe
	s_xor_b32 s0, exec_lo, s0
; %bb.141:
	s_delay_alu instid0(VALU_DEP_2) | instskip(SKIP_3) | instid1(VALU_DEP_2)
	v_cmp_lt_u32_e32 vcc_lo, 0xffffff, v109
	v_sub_nc_u32_e32 v104, v110, v111
	s_wait_alu 0xfffd
	v_cndmask_b32_e64 v110, 0, 1, vcc_lo
	v_add_co_ci_u32_e64 v104, null, 0, v104, vcc_lo
	s_delay_alu instid0(VALU_DEP_2)
	v_lshrrev_b32_e32 v109, v110, v109
; %bb.142:
	s_wait_alu 0xfffe
	s_and_not1_saveexec_b32 s0, s0
; %bb.143:
	s_delay_alu instid0(VALU_DEP_1)
	v_bfe_u32 v104, v109, 23, 1
; %bb.144:
	s_wait_alu 0xfffe
	s_or_b32 exec_lo, exec_lo, s0
	v_lshrrev_b32_e32 v109, 20, v109
	s_delay_alu instid0(VALU_DEP_2) | instskip(SKIP_3) | instid1(VALU_DEP_2)
	v_cmp_gt_i32_e32 vcc_lo, 16, v104
	v_min_i32_e32 v110, 15, v104
	v_lshrrev_b32_e32 v105, 24, v105
	s_wait_alu 0xfffd
	v_dual_cndmask_b32 v109, 7, v109 :: v_dual_lshlrev_b32 v110, 3, v110
	s_delay_alu instid0(VALU_DEP_2) | instskip(NEXT) | instid1(VALU_DEP_2)
	v_and_b32_e32 v105, 0x80, v105
	v_or_b32_e32 v104, v104, v109
	v_and_b32_e32 v111, 7, v109
	s_delay_alu instid0(VALU_DEP_2) | instskip(SKIP_1) | instid1(VALU_DEP_1)
	v_cmp_ne_u32_e32 vcc_lo, 0, v104
	v_and_b32_e32 v110, 0xf8, v110
	v_or3_b32 v105, v105, v110, v111
	s_delay_alu instid0(VALU_DEP_1) | instskip(SKIP_1) | instid1(VALU_DEP_1)
	v_lshlrev_b32_e32 v105, 8, v105
	s_wait_alu 0xfffd
	v_cndmask_b32_e32 v109, 0, v105, vcc_lo
.LBB3_145:
	s_wait_alu 0xfffe
	s_or_b32 exec_lo, exec_lo, s4
.LBB3_146:
	s_delay_alu instid0(SALU_CYCLE_1) | instskip(SKIP_3) | instid1(VALU_DEP_2)
	s_or_b32 exec_lo, exec_lo, s2
	v_and_b32_e32 v104, 0x7f800000, v106
	v_mov_b32_e32 v110, 0x800000
	s_mov_b32 s2, exec_lo
	v_cmpx_ne_u32_e32 0x7f800000, v104
	s_cbranch_execz .LBB3_154
; %bb.147:
	v_mov_b32_e32 v110, 0
	s_mov_b32 s4, exec_lo
	v_cmpx_ne_u32_e32 0, v106
	s_cbranch_execz .LBB3_153
; %bb.148:
	v_bfe_u32 v104, v106, 23, 8
	v_and_b32_e32 v105, 0x7fffff, v106
	s_delay_alu instid0(VALU_DEP_2) | instskip(SKIP_1) | instid1(VALU_DEP_3)
	v_sub_nc_u32_e32 v110, 0x78, v104
	v_cmp_gt_u32_e32 vcc_lo, 0x79, v104
	v_or_b32_e32 v111, 0x800000, v105
	s_wait_alu 0xfffd
	s_delay_alu instid0(VALU_DEP_3) | instskip(SKIP_3) | instid1(VALU_DEP_3)
	v_cndmask_b32_e32 v110, 0, v110, vcc_lo
	v_cmp_eq_u32_e32 vcc_lo, 0, v104
	s_wait_alu 0xfffd
	v_dual_cndmask_b32 v105, v111, v105 :: v_dual_add_nc_u32 v104, 0xffffff89, v104
	v_cndmask_b32_e64 v110, v110, 0x77, vcc_lo
	s_delay_alu instid0(VALU_DEP_2) | instskip(NEXT) | instid1(VALU_DEP_2)
	v_cndmask_b32_e64 v104, v104, 0xffffff8a, vcc_lo
	v_lshrrev_b32_e32 v112, v110, v105
	v_lshl_add_u32 v111, 0x100000, v110, -1
	v_lshlrev_b32_e64 v114, v110, 0x80000
	s_delay_alu instid0(VALU_DEP_4) | instskip(NEXT) | instid1(VALU_DEP_4)
	v_add_nc_u32_e32 v110, v110, v104
	v_bfe_u32 v113, v112, 20, 1
	s_delay_alu instid0(VALU_DEP_4) | instskip(NEXT) | instid1(VALU_DEP_2)
	v_and_b32_e32 v105, v111, v105
	v_add_nc_u32_e32 v111, -1, v113
	s_delay_alu instid0(VALU_DEP_2) | instskip(SKIP_1) | instid1(VALU_DEP_1)
	v_cmp_eq_u32_e64 s0, v105, v114
	s_wait_alu 0xf1ff
	v_cndmask_b32_e64 v105, 0, v111, s0
	v_lshrrev_b32_e32 v111, 23, v112
	s_mov_b32 s0, exec_lo
	s_delay_alu instid0(VALU_DEP_2) | instskip(NEXT) | instid1(VALU_DEP_2)
	v_add_nc_u32_e32 v105, v105, v112
	v_xor_b32_e32 v111, 1, v111
	s_delay_alu instid0(VALU_DEP_2) | instskip(NEXT) | instid1(VALU_DEP_1)
	v_and_b32_e32 v104, 0xfffff, v105
	v_add_nc_u32_e32 v105, v104, v112
                                        ; implicit-def: $vgpr104
	s_delay_alu instid0(VALU_DEP_3)
	v_cmpx_ne_u32_e64 v110, v111
	s_wait_alu 0xfffe
	s_xor_b32 s0, exec_lo, s0
; %bb.149:
	s_delay_alu instid0(VALU_DEP_2) | instskip(SKIP_3) | instid1(VALU_DEP_2)
	v_cmp_lt_u32_e32 vcc_lo, 0xffffff, v105
	v_sub_nc_u32_e32 v104, v110, v111
	s_wait_alu 0xfffd
	v_cndmask_b32_e64 v110, 0, 1, vcc_lo
	v_add_co_ci_u32_e64 v104, null, 0, v104, vcc_lo
	s_delay_alu instid0(VALU_DEP_2)
	v_lshrrev_b32_e32 v105, v110, v105
; %bb.150:
	s_wait_alu 0xfffe
	s_and_not1_saveexec_b32 s0, s0
; %bb.151:
	s_delay_alu instid0(VALU_DEP_1)
	v_bfe_u32 v104, v105, 23, 1
; %bb.152:
	s_wait_alu 0xfffe
	s_or_b32 exec_lo, exec_lo, s0
	v_lshrrev_b32_e32 v105, 20, v105
	s_delay_alu instid0(VALU_DEP_2) | instskip(SKIP_3) | instid1(VALU_DEP_3)
	v_min_i32_e32 v110, 15, v104
	v_cmp_gt_i32_e32 vcc_lo, 16, v104
	v_lshrrev_b32_e32 v106, 24, v106
	s_wait_alu 0xfffd
	v_dual_cndmask_b32 v105, 7, v105 :: v_dual_lshlrev_b32 v110, 3, v110
	s_delay_alu instid0(VALU_DEP_2) | instskip(NEXT) | instid1(VALU_DEP_2)
	v_and_b32_e32 v106, 0x80, v106
	v_and_b32_e32 v110, 0xf8, v110
	s_delay_alu instid0(VALU_DEP_3) | instskip(SKIP_1) | instid1(VALU_DEP_2)
	v_and_b32_e32 v111, 7, v105
	v_or_b32_e32 v104, v104, v105
	v_or3_b32 v106, v106, v110, v111
	s_delay_alu instid0(VALU_DEP_2) | instskip(NEXT) | instid1(VALU_DEP_2)
	v_cmp_ne_u32_e32 vcc_lo, 0, v104
	v_lshlrev_b32_e32 v105, 16, v106
	s_wait_alu 0xfffd
	s_delay_alu instid0(VALU_DEP_1)
	v_cndmask_b32_e32 v110, 0, v105, vcc_lo
.LBB3_153:
	s_wait_alu 0xfffe
	s_or_b32 exec_lo, exec_lo, s4
.LBB3_154:
	s_delay_alu instid0(SALU_CYCLE_1) | instskip(SKIP_4) | instid1(VALU_DEP_3)
	s_or_b32 exec_lo, exec_lo, s2
	v_and_b32_e32 v104, 0x7f800000, v107
	v_add_nc_u32_e32 v111, 64, v124
	v_bfrev_b32_e32 v112, 1
	s_mov_b32 s2, exec_lo
	v_cmpx_ne_u32_e32 0x7f800000, v104
	s_cbranch_execz .LBB3_162
; %bb.155:
	v_mov_b32_e32 v112, 0
	s_mov_b32 s4, exec_lo
	v_cmpx_ne_u32_e32 0, v107
	s_cbranch_execz .LBB3_161
; %bb.156:
	v_bfe_u32 v104, v107, 23, 8
	s_delay_alu instid0(VALU_DEP_1) | instskip(SKIP_2) | instid1(VALU_DEP_2)
	v_sub_nc_u32_e32 v106, 0x78, v104
	v_cmp_gt_u32_e32 vcc_lo, 0x79, v104
	s_wait_alu 0xfffd
	v_dual_cndmask_b32 v106, 0, v106 :: v_dual_and_b32 v105, 0x7fffff, v107
	s_delay_alu instid0(VALU_DEP_1)
	v_or_b32_e32 v112, 0x800000, v105
	v_cmp_eq_u32_e32 vcc_lo, 0, v104
	v_add_nc_u32_e32 v104, 0xffffff89, v104
	s_wait_alu 0xfffd
	v_cndmask_b32_e64 v106, v106, 0x77, vcc_lo
	v_cndmask_b32_e32 v105, v112, v105, vcc_lo
	s_delay_alu instid0(VALU_DEP_3) | instskip(NEXT) | instid1(VALU_DEP_3)
	v_cndmask_b32_e64 v104, v104, 0xffffff8a, vcc_lo
	v_lshl_add_u32 v112, 0x100000, v106, -1
	s_delay_alu instid0(VALU_DEP_3) | instskip(SKIP_1) | instid1(VALU_DEP_4)
	v_lshrrev_b32_e32 v113, v106, v105
	v_lshlrev_b32_e64 v115, v106, 0x80000
	v_add_nc_u32_e32 v106, v106, v104
	s_delay_alu instid0(VALU_DEP_4) | instskip(NEXT) | instid1(VALU_DEP_4)
	v_and_b32_e32 v105, v112, v105
	v_bfe_u32 v114, v113, 20, 1
	s_delay_alu instid0(VALU_DEP_2) | instskip(NEXT) | instid1(VALU_DEP_2)
	v_cmp_eq_u32_e64 s0, v105, v115
	v_add_nc_u32_e32 v112, -1, v114
	s_wait_alu 0xf1ff
	s_delay_alu instid0(VALU_DEP_1) | instskip(SKIP_2) | instid1(VALU_DEP_2)
	v_cndmask_b32_e64 v105, 0, v112, s0
	v_lshrrev_b32_e32 v112, 23, v113
	s_mov_b32 s0, exec_lo
	v_add_nc_u32_e32 v105, v105, v113
	s_delay_alu instid0(VALU_DEP_2) | instskip(NEXT) | instid1(VALU_DEP_2)
	v_xor_b32_e32 v112, 1, v112
	v_and_b32_e32 v104, 0xfffff, v105
	s_delay_alu instid0(VALU_DEP_1) | instskip(NEXT) | instid1(VALU_DEP_3)
	v_add_nc_u32_e32 v105, v104, v113
                                        ; implicit-def: $vgpr104
	v_cmpx_ne_u32_e64 v106, v112
	s_wait_alu 0xfffe
	s_xor_b32 s0, exec_lo, s0
; %bb.157:
	s_delay_alu instid0(VALU_DEP_2) | instskip(SKIP_3) | instid1(VALU_DEP_2)
	v_cmp_lt_u32_e32 vcc_lo, 0xffffff, v105
	v_sub_nc_u32_e32 v104, v106, v112
	s_wait_alu 0xfffd
	v_cndmask_b32_e64 v106, 0, 1, vcc_lo
	v_add_co_ci_u32_e64 v104, null, 0, v104, vcc_lo
	s_delay_alu instid0(VALU_DEP_2)
	v_lshrrev_b32_e32 v105, v106, v105
; %bb.158:
	s_wait_alu 0xfffe
	s_and_not1_saveexec_b32 s0, s0
; %bb.159:
	s_delay_alu instid0(VALU_DEP_1)
	v_bfe_u32 v104, v105, 23, 1
; %bb.160:
	s_wait_alu 0xfffe
	s_or_b32 exec_lo, exec_lo, s0
	v_lshrrev_b32_e32 v105, 20, v105
	s_delay_alu instid0(VALU_DEP_2) | instskip(SKIP_3) | instid1(VALU_DEP_2)
	v_cmp_gt_i32_e32 vcc_lo, 16, v104
	v_lshrrev_b32_e32 v106, 24, v107
	v_min_i32_e32 v107, 15, v104
	s_wait_alu 0xfffd
	v_dual_cndmask_b32 v105, 7, v105 :: v_dual_and_b32 v106, 0x80, v106
	s_delay_alu instid0(VALU_DEP_1) | instskip(SKIP_1) | instid1(VALU_DEP_2)
	v_or_b32_e32 v104, v104, v105
	v_and_b32_e32 v112, 7, v105
	v_cmp_ne_u32_e32 vcc_lo, 0, v104
	v_lshlrev_b32_e32 v107, 3, v107
	s_delay_alu instid0(VALU_DEP_1) | instskip(NEXT) | instid1(VALU_DEP_1)
	v_or3_b32 v106, v106, v107, v112
	v_lshlrev_b32_e32 v105, 24, v106
	s_wait_alu 0xfffd
	s_delay_alu instid0(VALU_DEP_1)
	v_cndmask_b32_e32 v112, 0, v105, vcc_lo
.LBB3_161:
	s_wait_alu 0xfffe
	s_or_b32 exec_lo, exec_lo, s4
.LBB3_162:
	s_delay_alu instid0(SALU_CYCLE_1)
	s_or_b32 exec_lo, exec_lo, s2
	ds_load_b128 v[104:107], v208 offset:16
	v_or_b32_e32 v109, v109, v108
	s_lshl_b32 s4, s6, 5
	v_wmma_f32_16x16x16_fp8_fp8 v[96:103], v[196:197], v[136:137], v[96:103]
	s_wait_alu 0xfffe
	v_add_nc_u32_e32 v108, s4, v111
	s_mov_b32 s0, s14
	v_or3_b32 v110, v110, v109, v112
	v_mov_b32_e32 v109, 0x80
	s_mov_b32 s2, s5
	buffer_store_b32 v110, v108, s[0:3], null offen
	s_mov_b32 s2, exec_lo
	s_wait_dscnt 0x0
	v_and_b32_e32 v113, 0x7f800000, v104
	s_delay_alu instid0(VALU_DEP_1)
	v_cmpx_ne_u32_e32 0x7f800000, v113
	s_cbranch_execz .LBB3_170
; %bb.163:
	v_mov_b32_e32 v109, 0
	s_mov_b32 s6, exec_lo
	v_cmpx_ne_u32_e32 0, v104
	s_cbranch_execz .LBB3_169
; %bb.164:
	v_bfe_u32 v109, v104, 23, 8
	s_delay_alu instid0(VALU_DEP_1) | instskip(SKIP_2) | instid1(VALU_DEP_2)
	v_sub_nc_u32_e32 v111, 0x78, v109
	v_cmp_gt_u32_e32 vcc_lo, 0x79, v109
	s_wait_alu 0xfffd
	v_dual_cndmask_b32 v111, 0, v111 :: v_dual_and_b32 v110, 0x7fffff, v104
	s_delay_alu instid0(VALU_DEP_1) | instskip(SKIP_2) | instid1(VALU_DEP_2)
	v_or_b32_e32 v112, 0x800000, v110
	v_cmp_eq_u32_e32 vcc_lo, 0, v109
	s_wait_alu 0xfffd
	v_dual_cndmask_b32 v110, v112, v110 :: v_dual_add_nc_u32 v109, 0xffffff89, v109
	v_cndmask_b32_e64 v111, v111, 0x77, vcc_lo
	s_delay_alu instid0(VALU_DEP_2) | instskip(NEXT) | instid1(VALU_DEP_2)
	v_cndmask_b32_e64 v109, v109, 0xffffff8a, vcc_lo
	v_lshrrev_b32_e32 v113, v111, v110
	v_lshl_add_u32 v112, 0x100000, v111, -1
	v_lshlrev_b32_e64 v115, v111, 0x80000
	s_delay_alu instid0(VALU_DEP_4) | instskip(NEXT) | instid1(VALU_DEP_4)
	v_add_nc_u32_e32 v111, v111, v109
	v_bfe_u32 v114, v113, 20, 1
	s_delay_alu instid0(VALU_DEP_4) | instskip(NEXT) | instid1(VALU_DEP_2)
	v_and_b32_e32 v110, v112, v110
	v_add_nc_u32_e32 v112, -1, v114
	s_delay_alu instid0(VALU_DEP_2) | instskip(SKIP_1) | instid1(VALU_DEP_1)
	v_cmp_eq_u32_e64 s0, v110, v115
	s_wait_alu 0xf1ff
	v_cndmask_b32_e64 v110, 0, v112, s0
	v_lshrrev_b32_e32 v112, 23, v113
	s_mov_b32 s0, exec_lo
	s_delay_alu instid0(VALU_DEP_2) | instskip(NEXT) | instid1(VALU_DEP_2)
	v_add_nc_u32_e32 v110, v110, v113
	v_xor_b32_e32 v112, 1, v112
	s_delay_alu instid0(VALU_DEP_2) | instskip(NEXT) | instid1(VALU_DEP_1)
	v_and_b32_e32 v109, 0xfffff, v110
	v_add_nc_u32_e32 v110, v109, v113
                                        ; implicit-def: $vgpr109
	s_delay_alu instid0(VALU_DEP_3)
	v_cmpx_ne_u32_e64 v111, v112
	s_wait_alu 0xfffe
	s_xor_b32 s0, exec_lo, s0
; %bb.165:
	s_delay_alu instid0(VALU_DEP_2) | instskip(SKIP_3) | instid1(VALU_DEP_2)
	v_cmp_lt_u32_e32 vcc_lo, 0xffffff, v110
	v_sub_nc_u32_e32 v109, v111, v112
	s_wait_alu 0xfffd
	v_cndmask_b32_e64 v111, 0, 1, vcc_lo
	v_add_co_ci_u32_e64 v109, null, 0, v109, vcc_lo
	s_delay_alu instid0(VALU_DEP_2)
	v_lshrrev_b32_e32 v110, v111, v110
; %bb.166:
	s_wait_alu 0xfffe
	s_and_not1_saveexec_b32 s0, s0
; %bb.167:
	s_delay_alu instid0(VALU_DEP_1)
	v_bfe_u32 v109, v110, 23, 1
; %bb.168:
	s_wait_alu 0xfffe
	s_or_b32 exec_lo, exec_lo, s0
	v_lshrrev_b32_e32 v110, 20, v110
	s_delay_alu instid0(VALU_DEP_2) | instskip(SKIP_3) | instid1(VALU_DEP_2)
	v_cmp_gt_i32_e32 vcc_lo, 16, v109
	v_min_i32_e32 v111, 15, v109
	v_lshrrev_b32_e32 v104, 24, v104
	s_wait_alu 0xfffd
	v_dual_cndmask_b32 v110, 7, v110 :: v_dual_lshlrev_b32 v111, 3, v111
	s_delay_alu instid0(VALU_DEP_2) | instskip(NEXT) | instid1(VALU_DEP_2)
	v_and_b32_e32 v104, 0x80, v104
	v_or_b32_e32 v109, v109, v110
	s_delay_alu instid0(VALU_DEP_3) | instskip(NEXT) | instid1(VALU_DEP_2)
	v_and_b32_e32 v111, 0xf8, v111
	v_cmp_ne_u32_e32 vcc_lo, 0, v109
	v_and_b32_e32 v112, 7, v110
	s_delay_alu instid0(VALU_DEP_1) | instskip(SKIP_1) | instid1(VALU_DEP_1)
	v_or3_b32 v104, v111, v104, v112
	s_wait_alu 0xfffd
	v_cndmask_b32_e32 v109, 0, v104, vcc_lo
.LBB3_169:
	s_wait_alu 0xfffe
	s_or_b32 exec_lo, exec_lo, s6
.LBB3_170:
	s_delay_alu instid0(SALU_CYCLE_1) | instskip(SKIP_2) | instid1(VALU_DEP_2)
	s_or_b32 exec_lo, exec_lo, s2
	v_and_b32_e32 v104, 0x7f800000, v105
	v_wmma_f32_16x16x16_fp8_fp8 v[96:103], v[198:199], v[138:139], v[96:103]
	v_cmp_ne_u32_e32 vcc_lo, 0x7f800000, v104
	v_mov_b32_e32 v104, 0x8000
	s_and_saveexec_b32 s2, vcc_lo
	s_cbranch_execz .LBB3_178
; %bb.171:
	v_mov_b32_e32 v104, 0
	s_mov_b32 s6, exec_lo
	v_cmpx_ne_u32_e32 0, v105
	s_cbranch_execz .LBB3_177
; %bb.172:
	v_bfe_u32 v104, v105, 23, 8
	s_delay_alu instid0(VALU_DEP_1) | instskip(SKIP_2) | instid1(VALU_DEP_2)
	v_sub_nc_u32_e32 v111, 0x78, v104
	v_cmp_gt_u32_e32 vcc_lo, 0x79, v104
	s_wait_alu 0xfffd
	v_dual_cndmask_b32 v111, 0, v111 :: v_dual_and_b32 v110, 0x7fffff, v105
	s_delay_alu instid0(VALU_DEP_1) | instskip(SKIP_4) | instid1(VALU_DEP_2)
	v_or_b32_e32 v112, 0x800000, v110
	v_cmp_eq_u32_e32 vcc_lo, 0, v104
	v_add_nc_u32_e32 v104, 0xffffff89, v104
	s_wait_alu 0xfffd
	v_cndmask_b32_e64 v111, v111, 0x77, vcc_lo
	v_cndmask_b32_e64 v104, v104, 0xffffff8a, vcc_lo
	v_cndmask_b32_e32 v110, v112, v110, vcc_lo
	s_delay_alu instid0(VALU_DEP_3) | instskip(SKIP_1) | instid1(VALU_DEP_3)
	v_lshl_add_u32 v112, 0x100000, v111, -1
	v_lshlrev_b32_e64 v115, v111, 0x80000
	v_lshrrev_b32_e32 v113, v111, v110
	v_add_nc_u32_e32 v111, v111, v104
	s_delay_alu instid0(VALU_DEP_4) | instskip(NEXT) | instid1(VALU_DEP_3)
	v_and_b32_e32 v110, v112, v110
	v_bfe_u32 v114, v113, 20, 1
	s_delay_alu instid0(VALU_DEP_2) | instskip(NEXT) | instid1(VALU_DEP_2)
	v_cmp_eq_u32_e64 s0, v110, v115
	v_add_nc_u32_e32 v112, -1, v114
	s_wait_alu 0xf1ff
	s_delay_alu instid0(VALU_DEP_1) | instskip(SKIP_2) | instid1(VALU_DEP_2)
	v_cndmask_b32_e64 v110, 0, v112, s0
	v_lshrrev_b32_e32 v112, 23, v113
	s_mov_b32 s0, exec_lo
	v_add_nc_u32_e32 v110, v110, v113
	s_delay_alu instid0(VALU_DEP_2) | instskip(NEXT) | instid1(VALU_DEP_2)
	v_xor_b32_e32 v112, 1, v112
	v_and_b32_e32 v104, 0xfffff, v110
	s_delay_alu instid0(VALU_DEP_1) | instskip(NEXT) | instid1(VALU_DEP_3)
	v_add_nc_u32_e32 v110, v104, v113
                                        ; implicit-def: $vgpr104
	v_cmpx_ne_u32_e64 v111, v112
	s_wait_alu 0xfffe
	s_xor_b32 s0, exec_lo, s0
; %bb.173:
	s_delay_alu instid0(VALU_DEP_2) | instskip(SKIP_3) | instid1(VALU_DEP_2)
	v_cmp_lt_u32_e32 vcc_lo, 0xffffff, v110
	v_sub_nc_u32_e32 v104, v111, v112
	s_wait_alu 0xfffd
	v_cndmask_b32_e64 v111, 0, 1, vcc_lo
	v_add_co_ci_u32_e64 v104, null, 0, v104, vcc_lo
	s_delay_alu instid0(VALU_DEP_2)
	v_lshrrev_b32_e32 v110, v111, v110
; %bb.174:
	s_wait_alu 0xfffe
	s_and_not1_saveexec_b32 s0, s0
; %bb.175:
	s_delay_alu instid0(VALU_DEP_1)
	v_bfe_u32 v104, v110, 23, 1
; %bb.176:
	s_wait_alu 0xfffe
	s_or_b32 exec_lo, exec_lo, s0
	v_lshrrev_b32_e32 v110, 20, v110
	s_delay_alu instid0(VALU_DEP_2) | instskip(SKIP_3) | instid1(VALU_DEP_2)
	v_cmp_gt_i32_e32 vcc_lo, 16, v104
	v_min_i32_e32 v111, 15, v104
	v_lshrrev_b32_e32 v105, 24, v105
	s_wait_alu 0xfffd
	v_dual_cndmask_b32 v110, 7, v110 :: v_dual_lshlrev_b32 v111, 3, v111
	s_delay_alu instid0(VALU_DEP_2) | instskip(NEXT) | instid1(VALU_DEP_2)
	v_and_b32_e32 v105, 0x80, v105
	v_or_b32_e32 v104, v104, v110
	v_and_b32_e32 v112, 7, v110
	s_delay_alu instid0(VALU_DEP_2) | instskip(SKIP_1) | instid1(VALU_DEP_1)
	v_cmp_ne_u32_e32 vcc_lo, 0, v104
	v_and_b32_e32 v111, 0xf8, v111
	v_or3_b32 v105, v105, v111, v112
	s_delay_alu instid0(VALU_DEP_1) | instskip(SKIP_1) | instid1(VALU_DEP_1)
	v_lshlrev_b32_e32 v105, 8, v105
	s_wait_alu 0xfffd
	v_cndmask_b32_e32 v104, 0, v105, vcc_lo
.LBB3_177:
	s_wait_alu 0xfffe
	s_or_b32 exec_lo, exec_lo, s6
.LBB3_178:
	s_delay_alu instid0(SALU_CYCLE_1) | instskip(SKIP_2) | instid1(VALU_DEP_2)
	s_or_b32 exec_lo, exec_lo, s2
	v_and_b32_e32 v105, 0x7f800000, v106
	v_wmma_f32_16x16x16_fp8_fp8 v[96:103], v[192:193], v[128:129], v[96:103]
	v_cmp_ne_u32_e32 vcc_lo, 0x7f800000, v105
	v_mov_b32_e32 v105, 0x800000
	s_and_saveexec_b32 s2, vcc_lo
	s_cbranch_execz .LBB3_186
; %bb.179:
	v_mov_b32_e32 v105, 0
	s_mov_b32 s6, exec_lo
	v_cmpx_ne_u32_e32 0, v106
	s_cbranch_execz .LBB3_185
; %bb.180:
	v_bfe_u32 v105, v106, 23, 8
	s_delay_alu instid0(VALU_DEP_1) | instskip(SKIP_2) | instid1(VALU_DEP_2)
	v_sub_nc_u32_e32 v111, 0x78, v105
	v_cmp_gt_u32_e32 vcc_lo, 0x79, v105
	s_wait_alu 0xfffd
	v_dual_cndmask_b32 v111, 0, v111 :: v_dual_and_b32 v110, 0x7fffff, v106
	s_delay_alu instid0(VALU_DEP_1) | instskip(SKIP_2) | instid1(VALU_DEP_2)
	v_or_b32_e32 v112, 0x800000, v110
	v_cmp_eq_u32_e32 vcc_lo, 0, v105
	s_wait_alu 0xfffd
	v_dual_cndmask_b32 v110, v112, v110 :: v_dual_add_nc_u32 v105, 0xffffff89, v105
	v_cndmask_b32_e64 v111, v111, 0x77, vcc_lo
	s_delay_alu instid0(VALU_DEP_2) | instskip(NEXT) | instid1(VALU_DEP_2)
	v_cndmask_b32_e64 v105, v105, 0xffffff8a, vcc_lo
	v_lshrrev_b32_e32 v113, v111, v110
	v_lshl_add_u32 v112, 0x100000, v111, -1
	v_lshlrev_b32_e64 v115, v111, 0x80000
	s_delay_alu instid0(VALU_DEP_4) | instskip(NEXT) | instid1(VALU_DEP_4)
	v_add_nc_u32_e32 v111, v111, v105
	v_bfe_u32 v114, v113, 20, 1
	s_delay_alu instid0(VALU_DEP_4) | instskip(NEXT) | instid1(VALU_DEP_2)
	v_and_b32_e32 v110, v112, v110
	v_add_nc_u32_e32 v112, -1, v114
	s_delay_alu instid0(VALU_DEP_2) | instskip(SKIP_1) | instid1(VALU_DEP_1)
	v_cmp_eq_u32_e64 s0, v110, v115
	s_wait_alu 0xf1ff
	v_cndmask_b32_e64 v110, 0, v112, s0
	v_lshrrev_b32_e32 v112, 23, v113
	s_mov_b32 s0, exec_lo
	s_delay_alu instid0(VALU_DEP_2) | instskip(NEXT) | instid1(VALU_DEP_2)
	v_add_nc_u32_e32 v110, v110, v113
	v_xor_b32_e32 v112, 1, v112
	s_delay_alu instid0(VALU_DEP_2) | instskip(NEXT) | instid1(VALU_DEP_1)
	v_and_b32_e32 v105, 0xfffff, v110
	v_add_nc_u32_e32 v110, v105, v113
                                        ; implicit-def: $vgpr105
	s_delay_alu instid0(VALU_DEP_3)
	v_cmpx_ne_u32_e64 v111, v112
	s_wait_alu 0xfffe
	s_xor_b32 s0, exec_lo, s0
; %bb.181:
	s_delay_alu instid0(VALU_DEP_2) | instskip(SKIP_3) | instid1(VALU_DEP_2)
	v_cmp_lt_u32_e32 vcc_lo, 0xffffff, v110
	v_sub_nc_u32_e32 v105, v111, v112
	s_wait_alu 0xfffd
	v_cndmask_b32_e64 v111, 0, 1, vcc_lo
	v_add_co_ci_u32_e64 v105, null, 0, v105, vcc_lo
	s_delay_alu instid0(VALU_DEP_2)
	v_lshrrev_b32_e32 v110, v111, v110
; %bb.182:
	s_wait_alu 0xfffe
	s_and_not1_saveexec_b32 s0, s0
; %bb.183:
	s_delay_alu instid0(VALU_DEP_1)
	v_bfe_u32 v105, v110, 23, 1
; %bb.184:
	s_wait_alu 0xfffe
	s_or_b32 exec_lo, exec_lo, s0
	v_lshrrev_b32_e32 v110, 20, v110
	s_delay_alu instid0(VALU_DEP_2) | instskip(SKIP_3) | instid1(VALU_DEP_3)
	v_min_i32_e32 v111, 15, v105
	v_cmp_gt_i32_e32 vcc_lo, 16, v105
	v_lshrrev_b32_e32 v106, 24, v106
	s_wait_alu 0xfffd
	v_dual_cndmask_b32 v110, 7, v110 :: v_dual_lshlrev_b32 v111, 3, v111
	s_delay_alu instid0(VALU_DEP_2) | instskip(NEXT) | instid1(VALU_DEP_2)
	v_and_b32_e32 v106, 0x80, v106
	v_and_b32_e32 v111, 0xf8, v111
	s_delay_alu instid0(VALU_DEP_3) | instskip(SKIP_1) | instid1(VALU_DEP_2)
	v_and_b32_e32 v112, 7, v110
	v_or_b32_e32 v105, v105, v110
	v_or3_b32 v106, v106, v111, v112
	s_delay_alu instid0(VALU_DEP_2) | instskip(NEXT) | instid1(VALU_DEP_2)
	v_cmp_ne_u32_e32 vcc_lo, 0, v105
	v_lshlrev_b32_e32 v106, 16, v106
	s_wait_alu 0xfffd
	s_delay_alu instid0(VALU_DEP_1)
	v_cndmask_b32_e32 v105, 0, v106, vcc_lo
.LBB3_185:
	s_wait_alu 0xfffe
	s_or_b32 exec_lo, exec_lo, s6
.LBB3_186:
	s_delay_alu instid0(SALU_CYCLE_1) | instskip(SKIP_2) | instid1(VALU_DEP_2)
	s_or_b32 exec_lo, exec_lo, s2
	v_and_b32_e32 v106, 0x7f800000, v107
	v_wmma_f32_16x16x16_fp8_fp8 v[96:103], v[194:195], v[130:131], v[96:103]
	v_cmp_ne_u32_e32 vcc_lo, 0x7f800000, v106
	v_bfrev_b32_e32 v106, 1
	s_and_saveexec_b32 s2, vcc_lo
	s_cbranch_execz .LBB3_194
; %bb.187:
	v_mov_b32_e32 v106, 0
	s_mov_b32 s6, exec_lo
	v_cmpx_ne_u32_e32 0, v107
	s_cbranch_execz .LBB3_193
; %bb.188:
	v_bfe_u32 v106, v107, 23, 8
	v_and_b32_e32 v110, 0x7fffff, v107
	s_delay_alu instid0(VALU_DEP_2) | instskip(SKIP_1) | instid1(VALU_DEP_3)
	v_sub_nc_u32_e32 v111, 0x78, v106
	v_cmp_gt_u32_e32 vcc_lo, 0x79, v106
	v_or_b32_e32 v112, 0x800000, v110
	s_wait_alu 0xfffd
	s_delay_alu instid0(VALU_DEP_3)
	v_cndmask_b32_e32 v111, 0, v111, vcc_lo
	v_cmp_eq_u32_e32 vcc_lo, 0, v106
	v_add_nc_u32_e32 v106, 0xffffff89, v106
	s_wait_alu 0xfffd
	v_cndmask_b32_e32 v110, v112, v110, vcc_lo
	v_cndmask_b32_e64 v111, v111, 0x77, vcc_lo
	s_delay_alu instid0(VALU_DEP_3) | instskip(NEXT) | instid1(VALU_DEP_2)
	v_cndmask_b32_e64 v106, v106, 0xffffff8a, vcc_lo
	v_lshrrev_b32_e32 v113, v111, v110
	v_lshl_add_u32 v112, 0x100000, v111, -1
	v_lshlrev_b32_e64 v115, v111, 0x80000
	s_delay_alu instid0(VALU_DEP_4) | instskip(NEXT) | instid1(VALU_DEP_4)
	v_add_nc_u32_e32 v111, v111, v106
	v_bfe_u32 v114, v113, 20, 1
	s_delay_alu instid0(VALU_DEP_4) | instskip(NEXT) | instid1(VALU_DEP_2)
	v_and_b32_e32 v110, v112, v110
	v_add_nc_u32_e32 v112, -1, v114
	s_delay_alu instid0(VALU_DEP_2) | instskip(SKIP_1) | instid1(VALU_DEP_1)
	v_cmp_eq_u32_e64 s0, v110, v115
	s_wait_alu 0xf1ff
	v_cndmask_b32_e64 v110, 0, v112, s0
	v_lshrrev_b32_e32 v112, 23, v113
	s_mov_b32 s0, exec_lo
	s_delay_alu instid0(VALU_DEP_2) | instskip(NEXT) | instid1(VALU_DEP_2)
	v_add_nc_u32_e32 v110, v110, v113
	v_xor_b32_e32 v112, 1, v112
	s_delay_alu instid0(VALU_DEP_2) | instskip(NEXT) | instid1(VALU_DEP_1)
	v_and_b32_e32 v106, 0xfffff, v110
	v_add_nc_u32_e32 v110, v106, v113
                                        ; implicit-def: $vgpr106
	s_delay_alu instid0(VALU_DEP_3)
	v_cmpx_ne_u32_e64 v111, v112
	s_wait_alu 0xfffe
	s_xor_b32 s0, exec_lo, s0
; %bb.189:
	s_delay_alu instid0(VALU_DEP_2) | instskip(SKIP_3) | instid1(VALU_DEP_2)
	v_cmp_lt_u32_e32 vcc_lo, 0xffffff, v110
	v_sub_nc_u32_e32 v106, v111, v112
	s_wait_alu 0xfffd
	v_cndmask_b32_e64 v111, 0, 1, vcc_lo
	v_add_co_ci_u32_e64 v106, null, 0, v106, vcc_lo
	s_delay_alu instid0(VALU_DEP_2)
	v_lshrrev_b32_e32 v110, v111, v110
; %bb.190:
	s_wait_alu 0xfffe
	s_and_not1_saveexec_b32 s0, s0
; %bb.191:
	s_delay_alu instid0(VALU_DEP_1)
	v_bfe_u32 v106, v110, 23, 1
; %bb.192:
	s_wait_alu 0xfffe
	s_or_b32 exec_lo, exec_lo, s0
	v_lshrrev_b32_e32 v110, 20, v110
	s_delay_alu instid0(VALU_DEP_2) | instskip(SKIP_3) | instid1(VALU_DEP_2)
	v_cmp_gt_i32_e32 vcc_lo, 16, v106
	v_lshrrev_b32_e32 v107, 24, v107
	v_min_i32_e32 v111, 15, v106
	s_wait_alu 0xfffd
	v_dual_cndmask_b32 v110, 7, v110 :: v_dual_and_b32 v107, 0x80, v107
	s_delay_alu instid0(VALU_DEP_2) | instskip(NEXT) | instid1(VALU_DEP_2)
	v_lshlrev_b32_e32 v111, 3, v111
	v_and_b32_e32 v112, 7, v110
	v_or_b32_e32 v106, v106, v110
	s_delay_alu instid0(VALU_DEP_2) | instskip(NEXT) | instid1(VALU_DEP_2)
	v_or3_b32 v107, v107, v111, v112
	v_cmp_ne_u32_e32 vcc_lo, 0, v106
	s_delay_alu instid0(VALU_DEP_2) | instskip(SKIP_1) | instid1(VALU_DEP_1)
	v_lshlrev_b32_e32 v107, 24, v107
	s_wait_alu 0xfffd
	v_cndmask_b32_e32 v106, 0, v107, vcc_lo
.LBB3_193:
	s_wait_alu 0xfffe
	s_or_b32 exec_lo, exec_lo, s6
.LBB3_194:
	s_delay_alu instid0(SALU_CYCLE_1) | instskip(SKIP_3) | instid1(VALU_DEP_1)
	s_or_b32 exec_lo, exec_lo, s2
	v_or_b32_e32 v104, v104, v109
	s_mov_b32 s0, s14
	s_mov_b32 s2, s5
	v_or3_b32 v104, v105, v104, v106
	buffer_store_b32 v104, v108, s[0:3], null offen offset:4
	s_wait_dscnt 0x0
	s_barrier_signal -1
	s_barrier_wait -1
	ds_store_2addr_stride64_b32 v209, v96, v97 offset1:1
	ds_store_2addr_stride64_b32 v209, v98, v99 offset0:2 offset1:3
	ds_store_2addr_stride64_b32 v209, v100, v101 offset0:4 offset1:5
	;; [unrolled: 1-line block ×3, first 2 shown]
	s_wait_dscnt 0x0
	s_barrier_signal -1
	s_barrier_wait -1
	ds_load_b128 v[96:99], v208
	s_wait_dscnt 0x0
	v_and_b32_e32 v100, 0x7f800000, v96
	s_delay_alu instid0(VALU_DEP_1)
	v_cmp_ne_u32_e32 vcc_lo, 0x7f800000, v100
	v_mov_b32_e32 v100, 0x80
	s_and_saveexec_b32 s2, vcc_lo
	s_cbranch_execz .LBB3_202
; %bb.195:
	v_mov_b32_e32 v100, 0
	s_mov_b32 s6, exec_lo
	v_cmpx_ne_u32_e32 0, v96
	s_cbranch_execz .LBB3_201
; %bb.196:
	v_bfe_u32 v100, v96, 23, 8
	s_delay_alu instid0(VALU_DEP_1) | instskip(SKIP_2) | instid1(VALU_DEP_2)
	v_sub_nc_u32_e32 v102, 0x78, v100
	v_cmp_gt_u32_e32 vcc_lo, 0x79, v100
	s_wait_alu 0xfffd
	v_dual_cndmask_b32 v102, 0, v102 :: v_dual_and_b32 v101, 0x7fffff, v96
	s_delay_alu instid0(VALU_DEP_1) | instskip(SKIP_2) | instid1(VALU_DEP_2)
	v_or_b32_e32 v103, 0x800000, v101
	v_cmp_eq_u32_e32 vcc_lo, 0, v100
	s_wait_alu 0xfffd
	v_dual_cndmask_b32 v101, v103, v101 :: v_dual_add_nc_u32 v100, 0xffffff89, v100
	v_cndmask_b32_e64 v102, v102, 0x77, vcc_lo
	s_delay_alu instid0(VALU_DEP_2) | instskip(NEXT) | instid1(VALU_DEP_2)
	v_cndmask_b32_e64 v100, v100, 0xffffff8a, vcc_lo
	v_lshrrev_b32_e32 v104, v102, v101
	v_lshl_add_u32 v103, 0x100000, v102, -1
	v_lshlrev_b32_e64 v106, v102, 0x80000
	s_delay_alu instid0(VALU_DEP_4) | instskip(NEXT) | instid1(VALU_DEP_4)
	v_add_nc_u32_e32 v102, v102, v100
	v_bfe_u32 v105, v104, 20, 1
	s_delay_alu instid0(VALU_DEP_4) | instskip(NEXT) | instid1(VALU_DEP_2)
	v_and_b32_e32 v101, v103, v101
	v_add_nc_u32_e32 v103, -1, v105
	s_delay_alu instid0(VALU_DEP_2) | instskip(SKIP_1) | instid1(VALU_DEP_1)
	v_cmp_eq_u32_e64 s0, v101, v106
	s_wait_alu 0xf1ff
	v_cndmask_b32_e64 v101, 0, v103, s0
	v_lshrrev_b32_e32 v103, 23, v104
	s_mov_b32 s0, exec_lo
	s_delay_alu instid0(VALU_DEP_2) | instskip(NEXT) | instid1(VALU_DEP_2)
	v_add_nc_u32_e32 v101, v101, v104
	v_xor_b32_e32 v103, 1, v103
	s_delay_alu instid0(VALU_DEP_2) | instskip(NEXT) | instid1(VALU_DEP_1)
	v_and_b32_e32 v100, 0xfffff, v101
	v_add_nc_u32_e32 v101, v100, v104
                                        ; implicit-def: $vgpr100
	s_delay_alu instid0(VALU_DEP_3)
	v_cmpx_ne_u32_e64 v102, v103
	s_wait_alu 0xfffe
	s_xor_b32 s0, exec_lo, s0
; %bb.197:
	s_delay_alu instid0(VALU_DEP_2) | instskip(SKIP_3) | instid1(VALU_DEP_2)
	v_cmp_lt_u32_e32 vcc_lo, 0xffffff, v101
	v_sub_nc_u32_e32 v100, v102, v103
	s_wait_alu 0xfffd
	v_cndmask_b32_e64 v102, 0, 1, vcc_lo
	v_add_co_ci_u32_e64 v100, null, 0, v100, vcc_lo
	s_delay_alu instid0(VALU_DEP_2)
	v_lshrrev_b32_e32 v101, v102, v101
; %bb.198:
	s_wait_alu 0xfffe
	s_and_not1_saveexec_b32 s0, s0
; %bb.199:
	s_delay_alu instid0(VALU_DEP_1)
	v_bfe_u32 v100, v101, 23, 1
; %bb.200:
	s_wait_alu 0xfffe
	s_or_b32 exec_lo, exec_lo, s0
	v_lshrrev_b32_e32 v101, 20, v101
	s_delay_alu instid0(VALU_DEP_2) | instskip(SKIP_3) | instid1(VALU_DEP_2)
	v_cmp_gt_i32_e32 vcc_lo, 16, v100
	v_min_i32_e32 v102, 15, v100
	v_lshrrev_b32_e32 v96, 24, v96
	s_wait_alu 0xfffd
	v_dual_cndmask_b32 v101, 7, v101 :: v_dual_lshlrev_b32 v102, 3, v102
	s_delay_alu instid0(VALU_DEP_2) | instskip(NEXT) | instid1(VALU_DEP_2)
	v_and_b32_e32 v96, 0x80, v96
	v_or_b32_e32 v100, v100, v101
	s_delay_alu instid0(VALU_DEP_3) | instskip(NEXT) | instid1(VALU_DEP_2)
	v_and_b32_e32 v102, 0xf8, v102
	v_cmp_ne_u32_e32 vcc_lo, 0, v100
	v_and_b32_e32 v103, 7, v101
	s_delay_alu instid0(VALU_DEP_1) | instskip(SKIP_1) | instid1(VALU_DEP_1)
	v_or3_b32 v96, v102, v96, v103
	s_wait_alu 0xfffd
	v_cndmask_b32_e32 v100, 0, v96, vcc_lo
.LBB3_201:
	s_wait_alu 0xfffe
	s_or_b32 exec_lo, exec_lo, s6
.LBB3_202:
	s_delay_alu instid0(SALU_CYCLE_1) | instskip(SKIP_3) | instid1(VALU_DEP_2)
	s_or_b32 exec_lo, exec_lo, s2
	v_and_b32_e32 v96, 0x7f800000, v97
	v_mov_b32_e32 v101, 0x8000
	s_mov_b32 s2, exec_lo
	v_cmpx_ne_u32_e32 0x7f800000, v96
	s_cbranch_execz .LBB3_210
; %bb.203:
	v_mov_b32_e32 v101, 0
	s_mov_b32 s6, exec_lo
	v_cmpx_ne_u32_e32 0, v97
	s_cbranch_execz .LBB3_209
; %bb.204:
	v_bfe_u32 v96, v97, 23, 8
	s_delay_alu instid0(VALU_DEP_1) | instskip(SKIP_2) | instid1(VALU_DEP_2)
	v_sub_nc_u32_e32 v102, 0x78, v96
	v_cmp_gt_u32_e32 vcc_lo, 0x79, v96
	s_wait_alu 0xfffd
	v_dual_cndmask_b32 v102, 0, v102 :: v_dual_and_b32 v101, 0x7fffff, v97
	s_delay_alu instid0(VALU_DEP_1) | instskip(SKIP_2) | instid1(VALU_DEP_2)
	v_or_b32_e32 v103, 0x800000, v101
	v_cmp_eq_u32_e32 vcc_lo, 0, v96
	s_wait_alu 0xfffd
	v_dual_cndmask_b32 v101, v103, v101 :: v_dual_add_nc_u32 v96, 0xffffff89, v96
	v_cndmask_b32_e64 v102, v102, 0x77, vcc_lo
	s_delay_alu instid0(VALU_DEP_2) | instskip(NEXT) | instid1(VALU_DEP_2)
	v_cndmask_b32_e64 v96, v96, 0xffffff8a, vcc_lo
	v_lshrrev_b32_e32 v104, v102, v101
	v_lshl_add_u32 v103, 0x100000, v102, -1
	v_lshlrev_b32_e64 v106, v102, 0x80000
	s_delay_alu instid0(VALU_DEP_4) | instskip(NEXT) | instid1(VALU_DEP_4)
	v_add_nc_u32_e32 v102, v102, v96
	v_bfe_u32 v105, v104, 20, 1
	s_delay_alu instid0(VALU_DEP_4) | instskip(NEXT) | instid1(VALU_DEP_2)
	v_and_b32_e32 v101, v103, v101
	v_add_nc_u32_e32 v103, -1, v105
	s_delay_alu instid0(VALU_DEP_2) | instskip(SKIP_1) | instid1(VALU_DEP_1)
	v_cmp_eq_u32_e64 s0, v101, v106
	s_wait_alu 0xf1ff
	v_cndmask_b32_e64 v101, 0, v103, s0
	v_lshrrev_b32_e32 v103, 23, v104
	s_mov_b32 s0, exec_lo
	s_delay_alu instid0(VALU_DEP_2) | instskip(NEXT) | instid1(VALU_DEP_2)
	v_add_nc_u32_e32 v101, v101, v104
	v_xor_b32_e32 v103, 1, v103
	s_delay_alu instid0(VALU_DEP_2) | instskip(NEXT) | instid1(VALU_DEP_1)
	v_and_b32_e32 v96, 0xfffff, v101
	v_add_nc_u32_e32 v101, v96, v104
                                        ; implicit-def: $vgpr96
	s_delay_alu instid0(VALU_DEP_3)
	v_cmpx_ne_u32_e64 v102, v103
	s_wait_alu 0xfffe
	s_xor_b32 s0, exec_lo, s0
; %bb.205:
	s_delay_alu instid0(VALU_DEP_2) | instskip(SKIP_3) | instid1(VALU_DEP_2)
	v_cmp_lt_u32_e32 vcc_lo, 0xffffff, v101
	v_sub_nc_u32_e32 v96, v102, v103
	s_wait_alu 0xfffd
	v_cndmask_b32_e64 v102, 0, 1, vcc_lo
	v_add_co_ci_u32_e64 v96, null, 0, v96, vcc_lo
	s_delay_alu instid0(VALU_DEP_2)
	v_lshrrev_b32_e32 v101, v102, v101
; %bb.206:
	s_wait_alu 0xfffe
	s_and_not1_saveexec_b32 s0, s0
; %bb.207:
	s_delay_alu instid0(VALU_DEP_1)
	v_bfe_u32 v96, v101, 23, 1
; %bb.208:
	s_wait_alu 0xfffe
	s_or_b32 exec_lo, exec_lo, s0
	v_lshrrev_b32_e32 v101, 20, v101
	s_delay_alu instid0(VALU_DEP_2) | instskip(SKIP_3) | instid1(VALU_DEP_2)
	v_cmp_gt_i32_e32 vcc_lo, 16, v96
	v_min_i32_e32 v102, 15, v96
	v_lshrrev_b32_e32 v97, 24, v97
	s_wait_alu 0xfffd
	v_dual_cndmask_b32 v101, 7, v101 :: v_dual_lshlrev_b32 v102, 3, v102
	s_delay_alu instid0(VALU_DEP_2) | instskip(NEXT) | instid1(VALU_DEP_2)
	v_and_b32_e32 v97, 0x80, v97
	v_or_b32_e32 v96, v96, v101
	v_and_b32_e32 v103, 7, v101
	s_delay_alu instid0(VALU_DEP_2) | instskip(SKIP_1) | instid1(VALU_DEP_1)
	v_cmp_ne_u32_e32 vcc_lo, 0, v96
	v_and_b32_e32 v102, 0xf8, v102
	v_or3_b32 v97, v97, v102, v103
	s_delay_alu instid0(VALU_DEP_1) | instskip(SKIP_1) | instid1(VALU_DEP_1)
	v_lshlrev_b32_e32 v97, 8, v97
	s_wait_alu 0xfffd
	v_cndmask_b32_e32 v101, 0, v97, vcc_lo
.LBB3_209:
	s_wait_alu 0xfffe
	s_or_b32 exec_lo, exec_lo, s6
.LBB3_210:
	s_delay_alu instid0(SALU_CYCLE_1) | instskip(SKIP_3) | instid1(VALU_DEP_2)
	s_or_b32 exec_lo, exec_lo, s2
	v_and_b32_e32 v96, 0x7f800000, v98
	v_mov_b32_e32 v102, 0x800000
	s_mov_b32 s2, exec_lo
	v_cmpx_ne_u32_e32 0x7f800000, v96
	s_cbranch_execz .LBB3_218
; %bb.211:
	v_mov_b32_e32 v102, 0
	s_mov_b32 s6, exec_lo
	v_cmpx_ne_u32_e32 0, v98
	s_cbranch_execz .LBB3_217
; %bb.212:
	v_bfe_u32 v96, v98, 23, 8
	v_and_b32_e32 v97, 0x7fffff, v98
	s_delay_alu instid0(VALU_DEP_2) | instskip(SKIP_1) | instid1(VALU_DEP_3)
	v_sub_nc_u32_e32 v102, 0x78, v96
	v_cmp_gt_u32_e32 vcc_lo, 0x79, v96
	v_or_b32_e32 v103, 0x800000, v97
	s_wait_alu 0xfffd
	s_delay_alu instid0(VALU_DEP_3) | instskip(SKIP_3) | instid1(VALU_DEP_3)
	v_cndmask_b32_e32 v102, 0, v102, vcc_lo
	v_cmp_eq_u32_e32 vcc_lo, 0, v96
	s_wait_alu 0xfffd
	v_dual_cndmask_b32 v97, v103, v97 :: v_dual_add_nc_u32 v96, 0xffffff89, v96
	v_cndmask_b32_e64 v102, v102, 0x77, vcc_lo
	s_delay_alu instid0(VALU_DEP_2) | instskip(NEXT) | instid1(VALU_DEP_2)
	v_cndmask_b32_e64 v96, v96, 0xffffff8a, vcc_lo
	v_lshrrev_b32_e32 v104, v102, v97
	v_lshl_add_u32 v103, 0x100000, v102, -1
	v_lshlrev_b32_e64 v106, v102, 0x80000
	s_delay_alu instid0(VALU_DEP_4) | instskip(NEXT) | instid1(VALU_DEP_4)
	v_add_nc_u32_e32 v102, v102, v96
	v_bfe_u32 v105, v104, 20, 1
	s_delay_alu instid0(VALU_DEP_4) | instskip(NEXT) | instid1(VALU_DEP_2)
	v_and_b32_e32 v97, v103, v97
	v_add_nc_u32_e32 v103, -1, v105
	s_delay_alu instid0(VALU_DEP_2) | instskip(SKIP_1) | instid1(VALU_DEP_1)
	v_cmp_eq_u32_e64 s0, v97, v106
	s_wait_alu 0xf1ff
	v_cndmask_b32_e64 v97, 0, v103, s0
	v_lshrrev_b32_e32 v103, 23, v104
	s_mov_b32 s0, exec_lo
	s_delay_alu instid0(VALU_DEP_2) | instskip(NEXT) | instid1(VALU_DEP_2)
	v_add_nc_u32_e32 v97, v97, v104
	v_xor_b32_e32 v103, 1, v103
	s_delay_alu instid0(VALU_DEP_2) | instskip(NEXT) | instid1(VALU_DEP_1)
	v_and_b32_e32 v96, 0xfffff, v97
	v_add_nc_u32_e32 v97, v96, v104
                                        ; implicit-def: $vgpr96
	s_delay_alu instid0(VALU_DEP_3)
	v_cmpx_ne_u32_e64 v102, v103
	s_wait_alu 0xfffe
	s_xor_b32 s0, exec_lo, s0
; %bb.213:
	s_delay_alu instid0(VALU_DEP_2) | instskip(SKIP_3) | instid1(VALU_DEP_2)
	v_cmp_lt_u32_e32 vcc_lo, 0xffffff, v97
	v_sub_nc_u32_e32 v96, v102, v103
	s_wait_alu 0xfffd
	v_cndmask_b32_e64 v102, 0, 1, vcc_lo
	v_add_co_ci_u32_e64 v96, null, 0, v96, vcc_lo
	s_delay_alu instid0(VALU_DEP_2)
	v_lshrrev_b32_e32 v97, v102, v97
; %bb.214:
	s_wait_alu 0xfffe
	s_and_not1_saveexec_b32 s0, s0
; %bb.215:
	s_delay_alu instid0(VALU_DEP_1)
	v_bfe_u32 v96, v97, 23, 1
; %bb.216:
	s_wait_alu 0xfffe
	s_or_b32 exec_lo, exec_lo, s0
	v_lshrrev_b32_e32 v97, 20, v97
	s_delay_alu instid0(VALU_DEP_2) | instskip(SKIP_3) | instid1(VALU_DEP_3)
	v_min_i32_e32 v102, 15, v96
	v_cmp_gt_i32_e32 vcc_lo, 16, v96
	v_lshrrev_b32_e32 v98, 24, v98
	s_wait_alu 0xfffd
	v_dual_cndmask_b32 v97, 7, v97 :: v_dual_lshlrev_b32 v102, 3, v102
	s_delay_alu instid0(VALU_DEP_2) | instskip(NEXT) | instid1(VALU_DEP_2)
	v_and_b32_e32 v98, 0x80, v98
	v_and_b32_e32 v102, 0xf8, v102
	s_delay_alu instid0(VALU_DEP_3) | instskip(SKIP_1) | instid1(VALU_DEP_2)
	v_and_b32_e32 v103, 7, v97
	v_or_b32_e32 v96, v96, v97
	v_or3_b32 v98, v98, v102, v103
	s_delay_alu instid0(VALU_DEP_2) | instskip(NEXT) | instid1(VALU_DEP_2)
	v_cmp_ne_u32_e32 vcc_lo, 0, v96
	v_lshlrev_b32_e32 v97, 16, v98
	s_wait_alu 0xfffd
	s_delay_alu instid0(VALU_DEP_1)
	v_cndmask_b32_e32 v102, 0, v97, vcc_lo
.LBB3_217:
	s_wait_alu 0xfffe
	s_or_b32 exec_lo, exec_lo, s6
.LBB3_218:
	s_delay_alu instid0(SALU_CYCLE_1) | instskip(SKIP_3) | instid1(VALU_DEP_2)
	s_or_b32 exec_lo, exec_lo, s2
	v_and_b32_e32 v96, 0x7f800000, v99
	v_bfrev_b32_e32 v103, 1
	s_mov_b32 s2, exec_lo
	v_cmpx_ne_u32_e32 0x7f800000, v96
	s_cbranch_execz .LBB3_226
; %bb.219:
	v_mov_b32_e32 v103, 0
	s_mov_b32 s6, exec_lo
	v_cmpx_ne_u32_e32 0, v99
	s_cbranch_execz .LBB3_225
; %bb.220:
	v_bfe_u32 v96, v99, 23, 8
	s_delay_alu instid0(VALU_DEP_1) | instskip(SKIP_2) | instid1(VALU_DEP_2)
	v_sub_nc_u32_e32 v98, 0x78, v96
	v_cmp_gt_u32_e32 vcc_lo, 0x79, v96
	s_wait_alu 0xfffd
	v_dual_cndmask_b32 v98, 0, v98 :: v_dual_and_b32 v97, 0x7fffff, v99
	s_delay_alu instid0(VALU_DEP_1) | instskip(SKIP_2) | instid1(VALU_DEP_2)
	v_or_b32_e32 v103, 0x800000, v97
	v_cmp_eq_u32_e32 vcc_lo, 0, v96
	s_wait_alu 0xfffd
	v_dual_cndmask_b32 v97, v103, v97 :: v_dual_add_nc_u32 v96, 0xffffff89, v96
	v_cndmask_b32_e64 v98, v98, 0x77, vcc_lo
	s_delay_alu instid0(VALU_DEP_2) | instskip(NEXT) | instid1(VALU_DEP_2)
	v_cndmask_b32_e64 v96, v96, 0xffffff8a, vcc_lo
	v_lshrrev_b32_e32 v104, v98, v97
	v_lshl_add_u32 v103, 0x100000, v98, -1
	v_lshlrev_b32_e64 v106, v98, 0x80000
	s_delay_alu instid0(VALU_DEP_4) | instskip(NEXT) | instid1(VALU_DEP_4)
	v_add_nc_u32_e32 v98, v98, v96
	v_bfe_u32 v105, v104, 20, 1
	s_delay_alu instid0(VALU_DEP_4) | instskip(NEXT) | instid1(VALU_DEP_2)
	v_and_b32_e32 v97, v103, v97
	v_add_nc_u32_e32 v103, -1, v105
	s_delay_alu instid0(VALU_DEP_2) | instskip(SKIP_1) | instid1(VALU_DEP_1)
	v_cmp_eq_u32_e64 s0, v97, v106
	s_wait_alu 0xf1ff
	v_cndmask_b32_e64 v97, 0, v103, s0
	v_lshrrev_b32_e32 v103, 23, v104
	s_mov_b32 s0, exec_lo
	s_delay_alu instid0(VALU_DEP_2) | instskip(NEXT) | instid1(VALU_DEP_2)
	v_add_nc_u32_e32 v97, v97, v104
	v_xor_b32_e32 v103, 1, v103
	s_delay_alu instid0(VALU_DEP_2) | instskip(NEXT) | instid1(VALU_DEP_1)
	v_and_b32_e32 v96, 0xfffff, v97
	v_add_nc_u32_e32 v97, v96, v104
                                        ; implicit-def: $vgpr96
	s_delay_alu instid0(VALU_DEP_3)
	v_cmpx_ne_u32_e64 v98, v103
	s_wait_alu 0xfffe
	s_xor_b32 s0, exec_lo, s0
; %bb.221:
	s_delay_alu instid0(VALU_DEP_2) | instskip(SKIP_3) | instid1(VALU_DEP_2)
	v_cmp_lt_u32_e32 vcc_lo, 0xffffff, v97
	v_sub_nc_u32_e32 v96, v98, v103
	s_wait_alu 0xfffd
	v_cndmask_b32_e64 v98, 0, 1, vcc_lo
	v_add_co_ci_u32_e64 v96, null, 0, v96, vcc_lo
	s_delay_alu instid0(VALU_DEP_2)
	v_lshrrev_b32_e32 v97, v98, v97
; %bb.222:
	s_wait_alu 0xfffe
	s_and_not1_saveexec_b32 s0, s0
; %bb.223:
	s_delay_alu instid0(VALU_DEP_1)
	v_bfe_u32 v96, v97, 23, 1
; %bb.224:
	s_wait_alu 0xfffe
	s_or_b32 exec_lo, exec_lo, s0
	v_lshrrev_b32_e32 v97, 20, v97
	s_delay_alu instid0(VALU_DEP_2) | instskip(SKIP_3) | instid1(VALU_DEP_2)
	v_cmp_gt_i32_e32 vcc_lo, 16, v96
	v_lshrrev_b32_e32 v98, 24, v99
	v_min_i32_e32 v99, 15, v96
	s_wait_alu 0xfffd
	v_dual_cndmask_b32 v97, 7, v97 :: v_dual_and_b32 v98, 0x80, v98
	s_delay_alu instid0(VALU_DEP_2) | instskip(NEXT) | instid1(VALU_DEP_2)
	v_lshlrev_b32_e32 v99, 3, v99
	v_and_b32_e32 v103, 7, v97
	v_or_b32_e32 v96, v96, v97
	s_delay_alu instid0(VALU_DEP_2) | instskip(NEXT) | instid1(VALU_DEP_2)
	v_or3_b32 v98, v98, v99, v103
	v_cmp_ne_u32_e32 vcc_lo, 0, v96
	s_delay_alu instid0(VALU_DEP_2) | instskip(SKIP_1) | instid1(VALU_DEP_1)
	v_lshlrev_b32_e32 v97, 24, v98
	s_wait_alu 0xfffd
	v_cndmask_b32_e32 v103, 0, v97, vcc_lo
.LBB3_225:
	s_wait_alu 0xfffe
	s_or_b32 exec_lo, exec_lo, s6
.LBB3_226:
	s_delay_alu instid0(SALU_CYCLE_1)
	s_or_b32 exec_lo, exec_lo, s2
	ds_load_b128 v[96:99], v208 offset:16
	v_or_b32_e32 v101, v101, v100
	v_add_nc_u32_e32 v100, s4, v124
	v_wmma_f32_16x16x16_fp8_fp8 v[88:95], v[188:189], v[136:137], v[88:95]
	s_mov_b32 s0, s14
	s_mov_b32 s2, s5
	v_or3_b32 v102, v102, v101, v103
	v_mov_b32_e32 v101, 0x80
	buffer_store_b32 v102, v100, s[0:3], null offen
	s_mov_b32 s2, exec_lo
	s_wait_dscnt 0x0
	v_and_b32_e32 v104, 0x7f800000, v96
	s_delay_alu instid0(VALU_DEP_1)
	v_cmpx_ne_u32_e32 0x7f800000, v104
	s_cbranch_execz .LBB3_234
; %bb.227:
	v_mov_b32_e32 v101, 0
	s_mov_b32 s6, exec_lo
	v_cmpx_ne_u32_e32 0, v96
	s_cbranch_execz .LBB3_233
; %bb.228:
	v_bfe_u32 v101, v96, 23, 8
	s_delay_alu instid0(VALU_DEP_1) | instskip(SKIP_2) | instid1(VALU_DEP_2)
	v_sub_nc_u32_e32 v103, 0x78, v101
	v_cmp_gt_u32_e32 vcc_lo, 0x79, v101
	s_wait_alu 0xfffd
	v_dual_cndmask_b32 v103, 0, v103 :: v_dual_and_b32 v102, 0x7fffff, v96
	s_delay_alu instid0(VALU_DEP_1) | instskip(SKIP_2) | instid1(VALU_DEP_2)
	v_or_b32_e32 v104, 0x800000, v102
	v_cmp_eq_u32_e32 vcc_lo, 0, v101
	s_wait_alu 0xfffd
	v_dual_cndmask_b32 v102, v104, v102 :: v_dual_add_nc_u32 v101, 0xffffff89, v101
	v_cndmask_b32_e64 v103, v103, 0x77, vcc_lo
	s_delay_alu instid0(VALU_DEP_2) | instskip(NEXT) | instid1(VALU_DEP_2)
	v_cndmask_b32_e64 v101, v101, 0xffffff8a, vcc_lo
	v_lshrrev_b32_e32 v105, v103, v102
	v_lshl_add_u32 v104, 0x100000, v103, -1
	v_lshlrev_b32_e64 v107, v103, 0x80000
	s_delay_alu instid0(VALU_DEP_4) | instskip(NEXT) | instid1(VALU_DEP_4)
	v_add_nc_u32_e32 v103, v103, v101
	v_bfe_u32 v106, v105, 20, 1
	s_delay_alu instid0(VALU_DEP_4) | instskip(NEXT) | instid1(VALU_DEP_2)
	v_and_b32_e32 v102, v104, v102
	v_add_nc_u32_e32 v104, -1, v106
	s_delay_alu instid0(VALU_DEP_2) | instskip(SKIP_1) | instid1(VALU_DEP_1)
	v_cmp_eq_u32_e64 s0, v102, v107
	s_wait_alu 0xf1ff
	v_cndmask_b32_e64 v102, 0, v104, s0
	v_lshrrev_b32_e32 v104, 23, v105
	s_mov_b32 s0, exec_lo
	s_delay_alu instid0(VALU_DEP_2) | instskip(NEXT) | instid1(VALU_DEP_2)
	v_add_nc_u32_e32 v102, v102, v105
	v_xor_b32_e32 v104, 1, v104
	s_delay_alu instid0(VALU_DEP_2) | instskip(NEXT) | instid1(VALU_DEP_1)
	v_and_b32_e32 v101, 0xfffff, v102
	v_add_nc_u32_e32 v102, v101, v105
                                        ; implicit-def: $vgpr101
	s_delay_alu instid0(VALU_DEP_3)
	v_cmpx_ne_u32_e64 v103, v104
	s_wait_alu 0xfffe
	s_xor_b32 s0, exec_lo, s0
; %bb.229:
	s_delay_alu instid0(VALU_DEP_2) | instskip(SKIP_3) | instid1(VALU_DEP_2)
	v_cmp_lt_u32_e32 vcc_lo, 0xffffff, v102
	v_sub_nc_u32_e32 v101, v103, v104
	s_wait_alu 0xfffd
	v_cndmask_b32_e64 v103, 0, 1, vcc_lo
	v_add_co_ci_u32_e64 v101, null, 0, v101, vcc_lo
	s_delay_alu instid0(VALU_DEP_2)
	v_lshrrev_b32_e32 v102, v103, v102
; %bb.230:
	s_wait_alu 0xfffe
	s_and_not1_saveexec_b32 s0, s0
; %bb.231:
	s_delay_alu instid0(VALU_DEP_1)
	v_bfe_u32 v101, v102, 23, 1
; %bb.232:
	s_wait_alu 0xfffe
	s_or_b32 exec_lo, exec_lo, s0
	v_lshrrev_b32_e32 v102, 20, v102
	s_delay_alu instid0(VALU_DEP_2) | instskip(SKIP_3) | instid1(VALU_DEP_2)
	v_cmp_gt_i32_e32 vcc_lo, 16, v101
	v_min_i32_e32 v103, 15, v101
	v_lshrrev_b32_e32 v96, 24, v96
	s_wait_alu 0xfffd
	v_dual_cndmask_b32 v102, 7, v102 :: v_dual_lshlrev_b32 v103, 3, v103
	s_delay_alu instid0(VALU_DEP_2) | instskip(NEXT) | instid1(VALU_DEP_2)
	v_and_b32_e32 v96, 0x80, v96
	v_or_b32_e32 v101, v101, v102
	s_delay_alu instid0(VALU_DEP_3) | instskip(NEXT) | instid1(VALU_DEP_2)
	v_and_b32_e32 v103, 0xf8, v103
	v_cmp_ne_u32_e32 vcc_lo, 0, v101
	v_and_b32_e32 v104, 7, v102
	s_delay_alu instid0(VALU_DEP_1) | instskip(SKIP_1) | instid1(VALU_DEP_1)
	v_or3_b32 v96, v103, v96, v104
	s_wait_alu 0xfffd
	v_cndmask_b32_e32 v101, 0, v96, vcc_lo
.LBB3_233:
	s_wait_alu 0xfffe
	s_or_b32 exec_lo, exec_lo, s6
.LBB3_234:
	s_delay_alu instid0(SALU_CYCLE_1) | instskip(SKIP_2) | instid1(VALU_DEP_2)
	s_or_b32 exec_lo, exec_lo, s2
	v_and_b32_e32 v96, 0x7f800000, v97
	v_wmma_f32_16x16x16_fp8_fp8 v[88:95], v[190:191], v[138:139], v[88:95]
	v_cmp_ne_u32_e32 vcc_lo, 0x7f800000, v96
	v_mov_b32_e32 v96, 0x8000
	s_and_saveexec_b32 s2, vcc_lo
	s_cbranch_execz .LBB3_242
; %bb.235:
	v_mov_b32_e32 v96, 0
	s_mov_b32 s6, exec_lo
	v_cmpx_ne_u32_e32 0, v97
	s_cbranch_execz .LBB3_241
; %bb.236:
	v_bfe_u32 v96, v97, 23, 8
	s_delay_alu instid0(VALU_DEP_1) | instskip(SKIP_2) | instid1(VALU_DEP_2)
	v_sub_nc_u32_e32 v103, 0x78, v96
	v_cmp_gt_u32_e32 vcc_lo, 0x79, v96
	s_wait_alu 0xfffd
	v_dual_cndmask_b32 v103, 0, v103 :: v_dual_and_b32 v102, 0x7fffff, v97
	s_delay_alu instid0(VALU_DEP_1) | instskip(SKIP_4) | instid1(VALU_DEP_2)
	v_or_b32_e32 v104, 0x800000, v102
	v_cmp_eq_u32_e32 vcc_lo, 0, v96
	v_add_nc_u32_e32 v96, 0xffffff89, v96
	s_wait_alu 0xfffd
	v_cndmask_b32_e64 v103, v103, 0x77, vcc_lo
	v_cndmask_b32_e64 v96, v96, 0xffffff8a, vcc_lo
	v_cndmask_b32_e32 v102, v104, v102, vcc_lo
	s_delay_alu instid0(VALU_DEP_3) | instskip(SKIP_1) | instid1(VALU_DEP_3)
	v_lshl_add_u32 v104, 0x100000, v103, -1
	v_lshlrev_b32_e64 v107, v103, 0x80000
	v_lshrrev_b32_e32 v105, v103, v102
	v_add_nc_u32_e32 v103, v103, v96
	s_delay_alu instid0(VALU_DEP_4) | instskip(NEXT) | instid1(VALU_DEP_3)
	v_and_b32_e32 v102, v104, v102
	v_bfe_u32 v106, v105, 20, 1
	s_delay_alu instid0(VALU_DEP_2) | instskip(NEXT) | instid1(VALU_DEP_2)
	v_cmp_eq_u32_e64 s0, v102, v107
	v_add_nc_u32_e32 v104, -1, v106
	s_wait_alu 0xf1ff
	s_delay_alu instid0(VALU_DEP_1) | instskip(SKIP_2) | instid1(VALU_DEP_2)
	v_cndmask_b32_e64 v102, 0, v104, s0
	v_lshrrev_b32_e32 v104, 23, v105
	s_mov_b32 s0, exec_lo
	v_add_nc_u32_e32 v102, v102, v105
	s_delay_alu instid0(VALU_DEP_2) | instskip(NEXT) | instid1(VALU_DEP_2)
	v_xor_b32_e32 v104, 1, v104
	v_and_b32_e32 v96, 0xfffff, v102
	s_delay_alu instid0(VALU_DEP_1) | instskip(NEXT) | instid1(VALU_DEP_3)
	v_add_nc_u32_e32 v102, v96, v105
                                        ; implicit-def: $vgpr96
	v_cmpx_ne_u32_e64 v103, v104
	s_wait_alu 0xfffe
	s_xor_b32 s0, exec_lo, s0
; %bb.237:
	s_delay_alu instid0(VALU_DEP_2) | instskip(SKIP_3) | instid1(VALU_DEP_2)
	v_cmp_lt_u32_e32 vcc_lo, 0xffffff, v102
	v_sub_nc_u32_e32 v96, v103, v104
	s_wait_alu 0xfffd
	v_cndmask_b32_e64 v103, 0, 1, vcc_lo
	v_add_co_ci_u32_e64 v96, null, 0, v96, vcc_lo
	s_delay_alu instid0(VALU_DEP_2)
	v_lshrrev_b32_e32 v102, v103, v102
; %bb.238:
	s_wait_alu 0xfffe
	s_and_not1_saveexec_b32 s0, s0
; %bb.239:
	s_delay_alu instid0(VALU_DEP_1)
	v_bfe_u32 v96, v102, 23, 1
; %bb.240:
	s_wait_alu 0xfffe
	s_or_b32 exec_lo, exec_lo, s0
	v_lshrrev_b32_e32 v102, 20, v102
	s_delay_alu instid0(VALU_DEP_2) | instskip(SKIP_3) | instid1(VALU_DEP_2)
	v_cmp_gt_i32_e32 vcc_lo, 16, v96
	v_min_i32_e32 v103, 15, v96
	v_lshrrev_b32_e32 v97, 24, v97
	s_wait_alu 0xfffd
	v_dual_cndmask_b32 v102, 7, v102 :: v_dual_lshlrev_b32 v103, 3, v103
	s_delay_alu instid0(VALU_DEP_2) | instskip(NEXT) | instid1(VALU_DEP_2)
	v_and_b32_e32 v97, 0x80, v97
	v_or_b32_e32 v96, v96, v102
	v_and_b32_e32 v104, 7, v102
	s_delay_alu instid0(VALU_DEP_2) | instskip(SKIP_1) | instid1(VALU_DEP_1)
	v_cmp_ne_u32_e32 vcc_lo, 0, v96
	v_and_b32_e32 v103, 0xf8, v103
	v_or3_b32 v97, v97, v103, v104
	s_delay_alu instid0(VALU_DEP_1) | instskip(SKIP_1) | instid1(VALU_DEP_1)
	v_lshlrev_b32_e32 v97, 8, v97
	s_wait_alu 0xfffd
	v_cndmask_b32_e32 v96, 0, v97, vcc_lo
.LBB3_241:
	s_wait_alu 0xfffe
	s_or_b32 exec_lo, exec_lo, s6
.LBB3_242:
	s_delay_alu instid0(SALU_CYCLE_1) | instskip(SKIP_2) | instid1(VALU_DEP_2)
	s_or_b32 exec_lo, exec_lo, s2
	v_and_b32_e32 v97, 0x7f800000, v98
	v_wmma_f32_16x16x16_fp8_fp8 v[88:95], v[184:185], v[128:129], v[88:95]
	v_cmp_ne_u32_e32 vcc_lo, 0x7f800000, v97
	v_mov_b32_e32 v97, 0x800000
	s_and_saveexec_b32 s2, vcc_lo
	s_cbranch_execz .LBB3_250
; %bb.243:
	v_mov_b32_e32 v97, 0
	s_mov_b32 s6, exec_lo
	v_cmpx_ne_u32_e32 0, v98
	s_cbranch_execz .LBB3_249
; %bb.244:
	v_bfe_u32 v97, v98, 23, 8
	s_delay_alu instid0(VALU_DEP_1) | instskip(SKIP_2) | instid1(VALU_DEP_2)
	v_sub_nc_u32_e32 v103, 0x78, v97
	v_cmp_gt_u32_e32 vcc_lo, 0x79, v97
	s_wait_alu 0xfffd
	v_dual_cndmask_b32 v103, 0, v103 :: v_dual_and_b32 v102, 0x7fffff, v98
	s_delay_alu instid0(VALU_DEP_1) | instskip(SKIP_2) | instid1(VALU_DEP_2)
	v_or_b32_e32 v104, 0x800000, v102
	v_cmp_eq_u32_e32 vcc_lo, 0, v97
	s_wait_alu 0xfffd
	v_dual_cndmask_b32 v102, v104, v102 :: v_dual_add_nc_u32 v97, 0xffffff89, v97
	v_cndmask_b32_e64 v103, v103, 0x77, vcc_lo
	s_delay_alu instid0(VALU_DEP_2) | instskip(NEXT) | instid1(VALU_DEP_2)
	v_cndmask_b32_e64 v97, v97, 0xffffff8a, vcc_lo
	v_lshrrev_b32_e32 v105, v103, v102
	v_lshl_add_u32 v104, 0x100000, v103, -1
	v_lshlrev_b32_e64 v107, v103, 0x80000
	s_delay_alu instid0(VALU_DEP_4) | instskip(NEXT) | instid1(VALU_DEP_4)
	v_add_nc_u32_e32 v103, v103, v97
	v_bfe_u32 v106, v105, 20, 1
	s_delay_alu instid0(VALU_DEP_4) | instskip(NEXT) | instid1(VALU_DEP_2)
	v_and_b32_e32 v102, v104, v102
	v_add_nc_u32_e32 v104, -1, v106
	s_delay_alu instid0(VALU_DEP_2) | instskip(SKIP_1) | instid1(VALU_DEP_1)
	v_cmp_eq_u32_e64 s0, v102, v107
	s_wait_alu 0xf1ff
	v_cndmask_b32_e64 v102, 0, v104, s0
	v_lshrrev_b32_e32 v104, 23, v105
	s_mov_b32 s0, exec_lo
	s_delay_alu instid0(VALU_DEP_2) | instskip(NEXT) | instid1(VALU_DEP_2)
	v_add_nc_u32_e32 v102, v102, v105
	v_xor_b32_e32 v104, 1, v104
	s_delay_alu instid0(VALU_DEP_2) | instskip(NEXT) | instid1(VALU_DEP_1)
	v_and_b32_e32 v97, 0xfffff, v102
	v_add_nc_u32_e32 v102, v97, v105
                                        ; implicit-def: $vgpr97
	s_delay_alu instid0(VALU_DEP_3)
	v_cmpx_ne_u32_e64 v103, v104
	s_wait_alu 0xfffe
	s_xor_b32 s0, exec_lo, s0
; %bb.245:
	s_delay_alu instid0(VALU_DEP_2) | instskip(SKIP_3) | instid1(VALU_DEP_2)
	v_cmp_lt_u32_e32 vcc_lo, 0xffffff, v102
	v_sub_nc_u32_e32 v97, v103, v104
	s_wait_alu 0xfffd
	v_cndmask_b32_e64 v103, 0, 1, vcc_lo
	v_add_co_ci_u32_e64 v97, null, 0, v97, vcc_lo
	s_delay_alu instid0(VALU_DEP_2)
	v_lshrrev_b32_e32 v102, v103, v102
; %bb.246:
	s_wait_alu 0xfffe
	s_and_not1_saveexec_b32 s0, s0
; %bb.247:
	s_delay_alu instid0(VALU_DEP_1)
	v_bfe_u32 v97, v102, 23, 1
; %bb.248:
	s_wait_alu 0xfffe
	s_or_b32 exec_lo, exec_lo, s0
	v_lshrrev_b32_e32 v102, 20, v102
	s_delay_alu instid0(VALU_DEP_2) | instskip(SKIP_3) | instid1(VALU_DEP_3)
	v_min_i32_e32 v103, 15, v97
	v_cmp_gt_i32_e32 vcc_lo, 16, v97
	v_lshrrev_b32_e32 v98, 24, v98
	s_wait_alu 0xfffd
	v_dual_cndmask_b32 v102, 7, v102 :: v_dual_lshlrev_b32 v103, 3, v103
	s_delay_alu instid0(VALU_DEP_2) | instskip(NEXT) | instid1(VALU_DEP_2)
	v_and_b32_e32 v98, 0x80, v98
	v_and_b32_e32 v103, 0xf8, v103
	s_delay_alu instid0(VALU_DEP_3) | instskip(SKIP_1) | instid1(VALU_DEP_2)
	v_and_b32_e32 v104, 7, v102
	v_or_b32_e32 v97, v97, v102
	v_or3_b32 v98, v98, v103, v104
	s_delay_alu instid0(VALU_DEP_2) | instskip(NEXT) | instid1(VALU_DEP_2)
	v_cmp_ne_u32_e32 vcc_lo, 0, v97
	v_lshlrev_b32_e32 v98, 16, v98
	s_wait_alu 0xfffd
	s_delay_alu instid0(VALU_DEP_1)
	v_cndmask_b32_e32 v97, 0, v98, vcc_lo
.LBB3_249:
	s_wait_alu 0xfffe
	s_or_b32 exec_lo, exec_lo, s6
.LBB3_250:
	s_delay_alu instid0(SALU_CYCLE_1) | instskip(SKIP_2) | instid1(VALU_DEP_2)
	s_or_b32 exec_lo, exec_lo, s2
	v_and_b32_e32 v98, 0x7f800000, v99
	v_wmma_f32_16x16x16_fp8_fp8 v[88:95], v[186:187], v[130:131], v[88:95]
	v_cmp_ne_u32_e32 vcc_lo, 0x7f800000, v98
	v_bfrev_b32_e32 v98, 1
	s_and_saveexec_b32 s2, vcc_lo
	s_cbranch_execz .LBB3_258
; %bb.251:
	v_mov_b32_e32 v98, 0
	s_mov_b32 s6, exec_lo
	v_cmpx_ne_u32_e32 0, v99
	s_cbranch_execz .LBB3_257
; %bb.252:
	v_bfe_u32 v98, v99, 23, 8
	v_and_b32_e32 v102, 0x7fffff, v99
	s_delay_alu instid0(VALU_DEP_2) | instskip(SKIP_1) | instid1(VALU_DEP_3)
	v_sub_nc_u32_e32 v103, 0x78, v98
	v_cmp_gt_u32_e32 vcc_lo, 0x79, v98
	v_or_b32_e32 v104, 0x800000, v102
	s_wait_alu 0xfffd
	s_delay_alu instid0(VALU_DEP_3)
	v_cndmask_b32_e32 v103, 0, v103, vcc_lo
	v_cmp_eq_u32_e32 vcc_lo, 0, v98
	v_add_nc_u32_e32 v98, 0xffffff89, v98
	s_wait_alu 0xfffd
	v_cndmask_b32_e32 v102, v104, v102, vcc_lo
	v_cndmask_b32_e64 v103, v103, 0x77, vcc_lo
	s_delay_alu instid0(VALU_DEP_3) | instskip(NEXT) | instid1(VALU_DEP_2)
	v_cndmask_b32_e64 v98, v98, 0xffffff8a, vcc_lo
	v_lshrrev_b32_e32 v105, v103, v102
	v_lshl_add_u32 v104, 0x100000, v103, -1
	v_lshlrev_b32_e64 v107, v103, 0x80000
	s_delay_alu instid0(VALU_DEP_4) | instskip(NEXT) | instid1(VALU_DEP_4)
	v_add_nc_u32_e32 v103, v103, v98
	v_bfe_u32 v106, v105, 20, 1
	s_delay_alu instid0(VALU_DEP_4) | instskip(NEXT) | instid1(VALU_DEP_2)
	v_and_b32_e32 v102, v104, v102
	v_add_nc_u32_e32 v104, -1, v106
	s_delay_alu instid0(VALU_DEP_2) | instskip(SKIP_1) | instid1(VALU_DEP_1)
	v_cmp_eq_u32_e64 s0, v102, v107
	s_wait_alu 0xf1ff
	v_cndmask_b32_e64 v102, 0, v104, s0
	v_lshrrev_b32_e32 v104, 23, v105
	s_mov_b32 s0, exec_lo
	s_delay_alu instid0(VALU_DEP_2) | instskip(NEXT) | instid1(VALU_DEP_2)
	v_add_nc_u32_e32 v102, v102, v105
	v_xor_b32_e32 v104, 1, v104
	s_delay_alu instid0(VALU_DEP_2) | instskip(NEXT) | instid1(VALU_DEP_1)
	v_and_b32_e32 v98, 0xfffff, v102
	v_add_nc_u32_e32 v102, v98, v105
                                        ; implicit-def: $vgpr98
	s_delay_alu instid0(VALU_DEP_3)
	v_cmpx_ne_u32_e64 v103, v104
	s_wait_alu 0xfffe
	s_xor_b32 s0, exec_lo, s0
; %bb.253:
	s_delay_alu instid0(VALU_DEP_2) | instskip(SKIP_3) | instid1(VALU_DEP_2)
	v_cmp_lt_u32_e32 vcc_lo, 0xffffff, v102
	v_sub_nc_u32_e32 v98, v103, v104
	s_wait_alu 0xfffd
	v_cndmask_b32_e64 v103, 0, 1, vcc_lo
	v_add_co_ci_u32_e64 v98, null, 0, v98, vcc_lo
	s_delay_alu instid0(VALU_DEP_2)
	v_lshrrev_b32_e32 v102, v103, v102
; %bb.254:
	s_wait_alu 0xfffe
	s_and_not1_saveexec_b32 s0, s0
; %bb.255:
	s_delay_alu instid0(VALU_DEP_1)
	v_bfe_u32 v98, v102, 23, 1
; %bb.256:
	s_wait_alu 0xfffe
	s_or_b32 exec_lo, exec_lo, s0
	v_lshrrev_b32_e32 v102, 20, v102
	s_delay_alu instid0(VALU_DEP_2) | instskip(SKIP_3) | instid1(VALU_DEP_2)
	v_cmp_gt_i32_e32 vcc_lo, 16, v98
	v_lshrrev_b32_e32 v99, 24, v99
	v_min_i32_e32 v103, 15, v98
	s_wait_alu 0xfffd
	v_dual_cndmask_b32 v102, 7, v102 :: v_dual_and_b32 v99, 0x80, v99
	s_delay_alu instid0(VALU_DEP_2) | instskip(NEXT) | instid1(VALU_DEP_2)
	v_lshlrev_b32_e32 v103, 3, v103
	v_and_b32_e32 v104, 7, v102
	v_or_b32_e32 v98, v98, v102
	s_delay_alu instid0(VALU_DEP_2) | instskip(NEXT) | instid1(VALU_DEP_2)
	v_or3_b32 v99, v99, v103, v104
	v_cmp_ne_u32_e32 vcc_lo, 0, v98
	s_delay_alu instid0(VALU_DEP_2) | instskip(SKIP_1) | instid1(VALU_DEP_1)
	v_lshlrev_b32_e32 v99, 24, v99
	s_wait_alu 0xfffd
	v_cndmask_b32_e32 v98, 0, v99, vcc_lo
.LBB3_257:
	s_wait_alu 0xfffe
	s_or_b32 exec_lo, exec_lo, s6
.LBB3_258:
	s_delay_alu instid0(SALU_CYCLE_1) | instskip(SKIP_3) | instid1(VALU_DEP_1)
	s_or_b32 exec_lo, exec_lo, s2
	v_or_b32_e32 v96, v96, v101
	s_mov_b32 s0, s14
	s_mov_b32 s2, s5
	v_or3_b32 v96, v97, v96, v98
	buffer_store_b32 v96, v100, s[0:3], null offen offset:4
	s_wait_dscnt 0x0
	s_barrier_signal -1
	s_barrier_wait -1
	ds_store_2addr_stride64_b32 v209, v88, v89 offset1:1
	ds_store_2addr_stride64_b32 v209, v90, v91 offset0:2 offset1:3
	ds_store_2addr_stride64_b32 v209, v92, v93 offset0:4 offset1:5
	;; [unrolled: 1-line block ×3, first 2 shown]
	s_wait_dscnt 0x0
	s_barrier_signal -1
	s_barrier_wait -1
	ds_load_b128 v[88:91], v208
	s_wait_dscnt 0x0
	v_and_b32_e32 v92, 0x7f800000, v88
	s_delay_alu instid0(VALU_DEP_1)
	v_cmp_ne_u32_e32 vcc_lo, 0x7f800000, v92
	v_mov_b32_e32 v92, 0x80
	s_and_saveexec_b32 s2, vcc_lo
	s_cbranch_execz .LBB3_266
; %bb.259:
	v_mov_b32_e32 v92, 0
	s_mov_b32 s6, exec_lo
	v_cmpx_ne_u32_e32 0, v88
	s_cbranch_execz .LBB3_265
; %bb.260:
	v_bfe_u32 v92, v88, 23, 8
	s_delay_alu instid0(VALU_DEP_1) | instskip(SKIP_2) | instid1(VALU_DEP_2)
	v_sub_nc_u32_e32 v94, 0x78, v92
	v_cmp_gt_u32_e32 vcc_lo, 0x79, v92
	s_wait_alu 0xfffd
	v_dual_cndmask_b32 v94, 0, v94 :: v_dual_and_b32 v93, 0x7fffff, v88
	s_delay_alu instid0(VALU_DEP_1) | instskip(SKIP_2) | instid1(VALU_DEP_2)
	v_or_b32_e32 v95, 0x800000, v93
	v_cmp_eq_u32_e32 vcc_lo, 0, v92
	s_wait_alu 0xfffd
	v_dual_cndmask_b32 v93, v95, v93 :: v_dual_add_nc_u32 v92, 0xffffff89, v92
	v_cndmask_b32_e64 v94, v94, 0x77, vcc_lo
	s_delay_alu instid0(VALU_DEP_2) | instskip(NEXT) | instid1(VALU_DEP_2)
	v_cndmask_b32_e64 v92, v92, 0xffffff8a, vcc_lo
	v_lshrrev_b32_e32 v96, v94, v93
	v_lshl_add_u32 v95, 0x100000, v94, -1
	v_lshlrev_b32_e64 v98, v94, 0x80000
	s_delay_alu instid0(VALU_DEP_4) | instskip(NEXT) | instid1(VALU_DEP_4)
	v_add_nc_u32_e32 v94, v94, v92
	v_bfe_u32 v97, v96, 20, 1
	s_delay_alu instid0(VALU_DEP_4) | instskip(NEXT) | instid1(VALU_DEP_2)
	v_and_b32_e32 v93, v95, v93
	v_add_nc_u32_e32 v95, -1, v97
	s_delay_alu instid0(VALU_DEP_2) | instskip(SKIP_1) | instid1(VALU_DEP_1)
	v_cmp_eq_u32_e64 s0, v93, v98
	s_wait_alu 0xf1ff
	v_cndmask_b32_e64 v93, 0, v95, s0
	v_lshrrev_b32_e32 v95, 23, v96
	s_mov_b32 s0, exec_lo
	s_delay_alu instid0(VALU_DEP_2) | instskip(NEXT) | instid1(VALU_DEP_2)
	v_add_nc_u32_e32 v93, v93, v96
	v_xor_b32_e32 v95, 1, v95
	s_delay_alu instid0(VALU_DEP_2) | instskip(NEXT) | instid1(VALU_DEP_1)
	v_and_b32_e32 v92, 0xfffff, v93
	v_add_nc_u32_e32 v93, v92, v96
                                        ; implicit-def: $vgpr92
	s_delay_alu instid0(VALU_DEP_3)
	v_cmpx_ne_u32_e64 v94, v95
	s_wait_alu 0xfffe
	s_xor_b32 s0, exec_lo, s0
; %bb.261:
	s_delay_alu instid0(VALU_DEP_2) | instskip(SKIP_3) | instid1(VALU_DEP_2)
	v_cmp_lt_u32_e32 vcc_lo, 0xffffff, v93
	v_sub_nc_u32_e32 v92, v94, v95
	s_wait_alu 0xfffd
	v_cndmask_b32_e64 v94, 0, 1, vcc_lo
	v_add_co_ci_u32_e64 v92, null, 0, v92, vcc_lo
	s_delay_alu instid0(VALU_DEP_2)
	v_lshrrev_b32_e32 v93, v94, v93
; %bb.262:
	s_wait_alu 0xfffe
	s_and_not1_saveexec_b32 s0, s0
; %bb.263:
	s_delay_alu instid0(VALU_DEP_1)
	v_bfe_u32 v92, v93, 23, 1
; %bb.264:
	s_wait_alu 0xfffe
	s_or_b32 exec_lo, exec_lo, s0
	v_lshrrev_b32_e32 v93, 20, v93
	s_delay_alu instid0(VALU_DEP_2) | instskip(SKIP_3) | instid1(VALU_DEP_2)
	v_cmp_gt_i32_e32 vcc_lo, 16, v92
	v_min_i32_e32 v94, 15, v92
	v_lshrrev_b32_e32 v88, 24, v88
	s_wait_alu 0xfffd
	v_dual_cndmask_b32 v93, 7, v93 :: v_dual_lshlrev_b32 v94, 3, v94
	s_delay_alu instid0(VALU_DEP_2) | instskip(NEXT) | instid1(VALU_DEP_2)
	v_and_b32_e32 v88, 0x80, v88
	v_or_b32_e32 v92, v92, v93
	s_delay_alu instid0(VALU_DEP_3) | instskip(NEXT) | instid1(VALU_DEP_2)
	v_and_b32_e32 v94, 0xf8, v94
	v_cmp_ne_u32_e32 vcc_lo, 0, v92
	v_and_b32_e32 v95, 7, v93
	s_delay_alu instid0(VALU_DEP_1) | instskip(SKIP_1) | instid1(VALU_DEP_1)
	v_or3_b32 v88, v94, v88, v95
	s_wait_alu 0xfffd
	v_cndmask_b32_e32 v92, 0, v88, vcc_lo
.LBB3_265:
	s_wait_alu 0xfffe
	s_or_b32 exec_lo, exec_lo, s6
.LBB3_266:
	s_delay_alu instid0(SALU_CYCLE_1) | instskip(SKIP_3) | instid1(VALU_DEP_2)
	s_or_b32 exec_lo, exec_lo, s2
	v_and_b32_e32 v88, 0x7f800000, v89
	v_mov_b32_e32 v93, 0x8000
	s_mov_b32 s2, exec_lo
	v_cmpx_ne_u32_e32 0x7f800000, v88
	s_cbranch_execz .LBB3_274
; %bb.267:
	v_mov_b32_e32 v93, 0
	s_mov_b32 s6, exec_lo
	v_cmpx_ne_u32_e32 0, v89
	s_cbranch_execz .LBB3_273
; %bb.268:
	v_bfe_u32 v88, v89, 23, 8
	s_delay_alu instid0(VALU_DEP_1) | instskip(SKIP_2) | instid1(VALU_DEP_2)
	v_sub_nc_u32_e32 v94, 0x78, v88
	v_cmp_gt_u32_e32 vcc_lo, 0x79, v88
	s_wait_alu 0xfffd
	v_dual_cndmask_b32 v94, 0, v94 :: v_dual_and_b32 v93, 0x7fffff, v89
	s_delay_alu instid0(VALU_DEP_1) | instskip(SKIP_2) | instid1(VALU_DEP_2)
	v_or_b32_e32 v95, 0x800000, v93
	v_cmp_eq_u32_e32 vcc_lo, 0, v88
	s_wait_alu 0xfffd
	v_dual_cndmask_b32 v93, v95, v93 :: v_dual_add_nc_u32 v88, 0xffffff89, v88
	v_cndmask_b32_e64 v94, v94, 0x77, vcc_lo
	s_delay_alu instid0(VALU_DEP_2) | instskip(NEXT) | instid1(VALU_DEP_2)
	v_cndmask_b32_e64 v88, v88, 0xffffff8a, vcc_lo
	v_lshrrev_b32_e32 v96, v94, v93
	v_lshl_add_u32 v95, 0x100000, v94, -1
	v_lshlrev_b32_e64 v98, v94, 0x80000
	s_delay_alu instid0(VALU_DEP_4) | instskip(NEXT) | instid1(VALU_DEP_4)
	v_add_nc_u32_e32 v94, v94, v88
	v_bfe_u32 v97, v96, 20, 1
	s_delay_alu instid0(VALU_DEP_4) | instskip(NEXT) | instid1(VALU_DEP_2)
	v_and_b32_e32 v93, v95, v93
	v_add_nc_u32_e32 v95, -1, v97
	s_delay_alu instid0(VALU_DEP_2) | instskip(SKIP_1) | instid1(VALU_DEP_1)
	v_cmp_eq_u32_e64 s0, v93, v98
	s_wait_alu 0xf1ff
	v_cndmask_b32_e64 v93, 0, v95, s0
	v_lshrrev_b32_e32 v95, 23, v96
	s_mov_b32 s0, exec_lo
	s_delay_alu instid0(VALU_DEP_2) | instskip(NEXT) | instid1(VALU_DEP_2)
	v_add_nc_u32_e32 v93, v93, v96
	v_xor_b32_e32 v95, 1, v95
	s_delay_alu instid0(VALU_DEP_2) | instskip(NEXT) | instid1(VALU_DEP_1)
	v_and_b32_e32 v88, 0xfffff, v93
	v_add_nc_u32_e32 v93, v88, v96
                                        ; implicit-def: $vgpr88
	s_delay_alu instid0(VALU_DEP_3)
	v_cmpx_ne_u32_e64 v94, v95
	s_wait_alu 0xfffe
	s_xor_b32 s0, exec_lo, s0
; %bb.269:
	s_delay_alu instid0(VALU_DEP_2) | instskip(SKIP_3) | instid1(VALU_DEP_2)
	v_cmp_lt_u32_e32 vcc_lo, 0xffffff, v93
	v_sub_nc_u32_e32 v88, v94, v95
	s_wait_alu 0xfffd
	v_cndmask_b32_e64 v94, 0, 1, vcc_lo
	v_add_co_ci_u32_e64 v88, null, 0, v88, vcc_lo
	s_delay_alu instid0(VALU_DEP_2)
	v_lshrrev_b32_e32 v93, v94, v93
; %bb.270:
	s_wait_alu 0xfffe
	s_and_not1_saveexec_b32 s0, s0
; %bb.271:
	s_delay_alu instid0(VALU_DEP_1)
	v_bfe_u32 v88, v93, 23, 1
; %bb.272:
	s_wait_alu 0xfffe
	s_or_b32 exec_lo, exec_lo, s0
	v_lshrrev_b32_e32 v93, 20, v93
	s_delay_alu instid0(VALU_DEP_2) | instskip(SKIP_3) | instid1(VALU_DEP_2)
	v_cmp_gt_i32_e32 vcc_lo, 16, v88
	v_min_i32_e32 v94, 15, v88
	v_lshrrev_b32_e32 v89, 24, v89
	s_wait_alu 0xfffd
	v_dual_cndmask_b32 v93, 7, v93 :: v_dual_lshlrev_b32 v94, 3, v94
	s_delay_alu instid0(VALU_DEP_2) | instskip(NEXT) | instid1(VALU_DEP_2)
	v_and_b32_e32 v89, 0x80, v89
	v_or_b32_e32 v88, v88, v93
	v_and_b32_e32 v95, 7, v93
	s_delay_alu instid0(VALU_DEP_2) | instskip(SKIP_1) | instid1(VALU_DEP_1)
	v_cmp_ne_u32_e32 vcc_lo, 0, v88
	v_and_b32_e32 v94, 0xf8, v94
	v_or3_b32 v89, v89, v94, v95
	s_delay_alu instid0(VALU_DEP_1) | instskip(SKIP_1) | instid1(VALU_DEP_1)
	v_lshlrev_b32_e32 v89, 8, v89
	s_wait_alu 0xfffd
	v_cndmask_b32_e32 v93, 0, v89, vcc_lo
.LBB3_273:
	s_wait_alu 0xfffe
	s_or_b32 exec_lo, exec_lo, s6
.LBB3_274:
	s_delay_alu instid0(SALU_CYCLE_1) | instskip(SKIP_3) | instid1(VALU_DEP_2)
	s_or_b32 exec_lo, exec_lo, s2
	v_and_b32_e32 v88, 0x7f800000, v90
	v_mov_b32_e32 v94, 0x800000
	s_mov_b32 s2, exec_lo
	v_cmpx_ne_u32_e32 0x7f800000, v88
	s_cbranch_execz .LBB3_282
; %bb.275:
	v_mov_b32_e32 v94, 0
	s_mov_b32 s6, exec_lo
	v_cmpx_ne_u32_e32 0, v90
	s_cbranch_execz .LBB3_281
; %bb.276:
	v_bfe_u32 v88, v90, 23, 8
	v_and_b32_e32 v89, 0x7fffff, v90
	s_delay_alu instid0(VALU_DEP_2) | instskip(SKIP_1) | instid1(VALU_DEP_3)
	v_sub_nc_u32_e32 v94, 0x78, v88
	v_cmp_gt_u32_e32 vcc_lo, 0x79, v88
	v_or_b32_e32 v95, 0x800000, v89
	s_wait_alu 0xfffd
	s_delay_alu instid0(VALU_DEP_3) | instskip(SKIP_3) | instid1(VALU_DEP_3)
	v_cndmask_b32_e32 v94, 0, v94, vcc_lo
	v_cmp_eq_u32_e32 vcc_lo, 0, v88
	s_wait_alu 0xfffd
	v_dual_cndmask_b32 v89, v95, v89 :: v_dual_add_nc_u32 v88, 0xffffff89, v88
	v_cndmask_b32_e64 v94, v94, 0x77, vcc_lo
	s_delay_alu instid0(VALU_DEP_2) | instskip(NEXT) | instid1(VALU_DEP_2)
	v_cndmask_b32_e64 v88, v88, 0xffffff8a, vcc_lo
	v_lshrrev_b32_e32 v96, v94, v89
	v_lshl_add_u32 v95, 0x100000, v94, -1
	v_lshlrev_b32_e64 v98, v94, 0x80000
	s_delay_alu instid0(VALU_DEP_4) | instskip(NEXT) | instid1(VALU_DEP_4)
	v_add_nc_u32_e32 v94, v94, v88
	v_bfe_u32 v97, v96, 20, 1
	s_delay_alu instid0(VALU_DEP_4) | instskip(NEXT) | instid1(VALU_DEP_2)
	v_and_b32_e32 v89, v95, v89
	v_add_nc_u32_e32 v95, -1, v97
	s_delay_alu instid0(VALU_DEP_2) | instskip(SKIP_1) | instid1(VALU_DEP_1)
	v_cmp_eq_u32_e64 s0, v89, v98
	s_wait_alu 0xf1ff
	v_cndmask_b32_e64 v89, 0, v95, s0
	v_lshrrev_b32_e32 v95, 23, v96
	s_mov_b32 s0, exec_lo
	s_delay_alu instid0(VALU_DEP_2) | instskip(NEXT) | instid1(VALU_DEP_2)
	v_add_nc_u32_e32 v89, v89, v96
	v_xor_b32_e32 v95, 1, v95
	s_delay_alu instid0(VALU_DEP_2) | instskip(NEXT) | instid1(VALU_DEP_1)
	v_and_b32_e32 v88, 0xfffff, v89
	v_add_nc_u32_e32 v89, v88, v96
                                        ; implicit-def: $vgpr88
	s_delay_alu instid0(VALU_DEP_3)
	v_cmpx_ne_u32_e64 v94, v95
	s_wait_alu 0xfffe
	s_xor_b32 s0, exec_lo, s0
; %bb.277:
	s_delay_alu instid0(VALU_DEP_2) | instskip(SKIP_3) | instid1(VALU_DEP_2)
	v_cmp_lt_u32_e32 vcc_lo, 0xffffff, v89
	v_sub_nc_u32_e32 v88, v94, v95
	s_wait_alu 0xfffd
	v_cndmask_b32_e64 v94, 0, 1, vcc_lo
	v_add_co_ci_u32_e64 v88, null, 0, v88, vcc_lo
	s_delay_alu instid0(VALU_DEP_2)
	v_lshrrev_b32_e32 v89, v94, v89
; %bb.278:
	s_wait_alu 0xfffe
	s_and_not1_saveexec_b32 s0, s0
; %bb.279:
	s_delay_alu instid0(VALU_DEP_1)
	v_bfe_u32 v88, v89, 23, 1
; %bb.280:
	s_wait_alu 0xfffe
	s_or_b32 exec_lo, exec_lo, s0
	v_lshrrev_b32_e32 v89, 20, v89
	s_delay_alu instid0(VALU_DEP_2) | instskip(SKIP_3) | instid1(VALU_DEP_3)
	v_min_i32_e32 v94, 15, v88
	v_cmp_gt_i32_e32 vcc_lo, 16, v88
	v_lshrrev_b32_e32 v90, 24, v90
	s_wait_alu 0xfffd
	v_dual_cndmask_b32 v89, 7, v89 :: v_dual_lshlrev_b32 v94, 3, v94
	s_delay_alu instid0(VALU_DEP_2) | instskip(NEXT) | instid1(VALU_DEP_2)
	v_and_b32_e32 v90, 0x80, v90
	v_and_b32_e32 v94, 0xf8, v94
	s_delay_alu instid0(VALU_DEP_3) | instskip(SKIP_1) | instid1(VALU_DEP_2)
	v_and_b32_e32 v95, 7, v89
	v_or_b32_e32 v88, v88, v89
	v_or3_b32 v90, v90, v94, v95
	s_delay_alu instid0(VALU_DEP_2) | instskip(NEXT) | instid1(VALU_DEP_2)
	v_cmp_ne_u32_e32 vcc_lo, 0, v88
	v_lshlrev_b32_e32 v89, 16, v90
	s_wait_alu 0xfffd
	s_delay_alu instid0(VALU_DEP_1)
	v_cndmask_b32_e32 v94, 0, v89, vcc_lo
.LBB3_281:
	s_wait_alu 0xfffe
	s_or_b32 exec_lo, exec_lo, s6
.LBB3_282:
	s_delay_alu instid0(SALU_CYCLE_1) | instskip(SKIP_3) | instid1(VALU_DEP_2)
	s_or_b32 exec_lo, exec_lo, s2
	v_and_b32_e32 v88, 0x7f800000, v91
	v_bfrev_b32_e32 v95, 1
	s_mov_b32 s2, exec_lo
	v_cmpx_ne_u32_e32 0x7f800000, v88
	s_cbranch_execz .LBB3_290
; %bb.283:
	v_mov_b32_e32 v95, 0
	s_mov_b32 s6, exec_lo
	v_cmpx_ne_u32_e32 0, v91
	s_cbranch_execz .LBB3_289
; %bb.284:
	v_bfe_u32 v88, v91, 23, 8
	s_delay_alu instid0(VALU_DEP_1) | instskip(SKIP_2) | instid1(VALU_DEP_2)
	v_sub_nc_u32_e32 v90, 0x78, v88
	v_cmp_gt_u32_e32 vcc_lo, 0x79, v88
	s_wait_alu 0xfffd
	v_dual_cndmask_b32 v90, 0, v90 :: v_dual_and_b32 v89, 0x7fffff, v91
	s_delay_alu instid0(VALU_DEP_1) | instskip(SKIP_2) | instid1(VALU_DEP_2)
	v_or_b32_e32 v95, 0x800000, v89
	v_cmp_eq_u32_e32 vcc_lo, 0, v88
	s_wait_alu 0xfffd
	v_dual_cndmask_b32 v89, v95, v89 :: v_dual_add_nc_u32 v88, 0xffffff89, v88
	v_cndmask_b32_e64 v90, v90, 0x77, vcc_lo
	s_delay_alu instid0(VALU_DEP_2) | instskip(NEXT) | instid1(VALU_DEP_2)
	v_cndmask_b32_e64 v88, v88, 0xffffff8a, vcc_lo
	v_lshrrev_b32_e32 v96, v90, v89
	v_lshl_add_u32 v95, 0x100000, v90, -1
	v_lshlrev_b32_e64 v98, v90, 0x80000
	s_delay_alu instid0(VALU_DEP_4) | instskip(NEXT) | instid1(VALU_DEP_4)
	v_add_nc_u32_e32 v90, v90, v88
	v_bfe_u32 v97, v96, 20, 1
	s_delay_alu instid0(VALU_DEP_4) | instskip(NEXT) | instid1(VALU_DEP_2)
	v_and_b32_e32 v89, v95, v89
	v_add_nc_u32_e32 v95, -1, v97
	s_delay_alu instid0(VALU_DEP_2) | instskip(SKIP_1) | instid1(VALU_DEP_1)
	v_cmp_eq_u32_e64 s0, v89, v98
	s_wait_alu 0xf1ff
	v_cndmask_b32_e64 v89, 0, v95, s0
	v_lshrrev_b32_e32 v95, 23, v96
	s_mov_b32 s0, exec_lo
	s_delay_alu instid0(VALU_DEP_2) | instskip(NEXT) | instid1(VALU_DEP_2)
	v_add_nc_u32_e32 v89, v89, v96
	v_xor_b32_e32 v95, 1, v95
	s_delay_alu instid0(VALU_DEP_2) | instskip(NEXT) | instid1(VALU_DEP_1)
	v_and_b32_e32 v88, 0xfffff, v89
	v_add_nc_u32_e32 v89, v88, v96
                                        ; implicit-def: $vgpr88
	s_delay_alu instid0(VALU_DEP_3)
	v_cmpx_ne_u32_e64 v90, v95
	s_wait_alu 0xfffe
	s_xor_b32 s0, exec_lo, s0
; %bb.285:
	s_delay_alu instid0(VALU_DEP_2) | instskip(SKIP_3) | instid1(VALU_DEP_2)
	v_cmp_lt_u32_e32 vcc_lo, 0xffffff, v89
	v_sub_nc_u32_e32 v88, v90, v95
	s_wait_alu 0xfffd
	v_cndmask_b32_e64 v90, 0, 1, vcc_lo
	v_add_co_ci_u32_e64 v88, null, 0, v88, vcc_lo
	s_delay_alu instid0(VALU_DEP_2)
	v_lshrrev_b32_e32 v89, v90, v89
; %bb.286:
	s_wait_alu 0xfffe
	s_and_not1_saveexec_b32 s0, s0
; %bb.287:
	s_delay_alu instid0(VALU_DEP_1)
	v_bfe_u32 v88, v89, 23, 1
; %bb.288:
	s_wait_alu 0xfffe
	s_or_b32 exec_lo, exec_lo, s0
	v_lshrrev_b32_e32 v89, 20, v89
	s_delay_alu instid0(VALU_DEP_2) | instskip(SKIP_3) | instid1(VALU_DEP_2)
	v_cmp_gt_i32_e32 vcc_lo, 16, v88
	v_lshrrev_b32_e32 v90, 24, v91
	v_min_i32_e32 v91, 15, v88
	s_wait_alu 0xfffd
	v_dual_cndmask_b32 v89, 7, v89 :: v_dual_and_b32 v90, 0x80, v90
	s_delay_alu instid0(VALU_DEP_2) | instskip(NEXT) | instid1(VALU_DEP_2)
	v_lshlrev_b32_e32 v91, 3, v91
	v_and_b32_e32 v95, 7, v89
	v_or_b32_e32 v88, v88, v89
	s_delay_alu instid0(VALU_DEP_2) | instskip(NEXT) | instid1(VALU_DEP_2)
	v_or3_b32 v90, v90, v91, v95
	v_cmp_ne_u32_e32 vcc_lo, 0, v88
	s_delay_alu instid0(VALU_DEP_2) | instskip(SKIP_1) | instid1(VALU_DEP_1)
	v_lshlrev_b32_e32 v89, 24, v90
	s_wait_alu 0xfffd
	v_cndmask_b32_e32 v95, 0, v89, vcc_lo
.LBB3_289:
	s_wait_alu 0xfffe
	s_or_b32 exec_lo, exec_lo, s6
.LBB3_290:
	s_delay_alu instid0(SALU_CYCLE_1)
	s_or_b32 exec_lo, exec_lo, s2
	ds_load_b128 v[88:91], v208 offset:16
	v_or_b32_e32 v93, v93, v92
	v_add_nc_u32_e32 v92, s4, v100
	v_wmma_f32_16x16x16_fp8_fp8 v[80:87], v[188:189], v[148:149], v[80:87]
	s_mov_b32 s0, s14
	s_mov_b32 s2, s5
	v_or3_b32 v94, v94, v93, v95
	v_mov_b32_e32 v93, 0x80
	buffer_store_b32 v94, v92, s[0:3], null offen
	s_mov_b32 s2, exec_lo
	s_wait_dscnt 0x0
	v_and_b32_e32 v96, 0x7f800000, v88
	s_delay_alu instid0(VALU_DEP_1)
	v_cmpx_ne_u32_e32 0x7f800000, v96
	s_cbranch_execz .LBB3_298
; %bb.291:
	v_mov_b32_e32 v93, 0
	s_mov_b32 s6, exec_lo
	v_cmpx_ne_u32_e32 0, v88
	s_cbranch_execz .LBB3_297
; %bb.292:
	v_bfe_u32 v93, v88, 23, 8
	s_delay_alu instid0(VALU_DEP_1) | instskip(SKIP_2) | instid1(VALU_DEP_2)
	v_sub_nc_u32_e32 v95, 0x78, v93
	v_cmp_gt_u32_e32 vcc_lo, 0x79, v93
	s_wait_alu 0xfffd
	v_dual_cndmask_b32 v95, 0, v95 :: v_dual_and_b32 v94, 0x7fffff, v88
	s_delay_alu instid0(VALU_DEP_1) | instskip(SKIP_2) | instid1(VALU_DEP_2)
	v_or_b32_e32 v96, 0x800000, v94
	v_cmp_eq_u32_e32 vcc_lo, 0, v93
	s_wait_alu 0xfffd
	v_dual_cndmask_b32 v94, v96, v94 :: v_dual_add_nc_u32 v93, 0xffffff89, v93
	v_cndmask_b32_e64 v95, v95, 0x77, vcc_lo
	s_delay_alu instid0(VALU_DEP_2) | instskip(NEXT) | instid1(VALU_DEP_2)
	v_cndmask_b32_e64 v93, v93, 0xffffff8a, vcc_lo
	v_lshrrev_b32_e32 v97, v95, v94
	v_lshl_add_u32 v96, 0x100000, v95, -1
	v_lshlrev_b32_e64 v99, v95, 0x80000
	s_delay_alu instid0(VALU_DEP_4) | instskip(NEXT) | instid1(VALU_DEP_4)
	v_add_nc_u32_e32 v95, v95, v93
	v_bfe_u32 v98, v97, 20, 1
	s_delay_alu instid0(VALU_DEP_4) | instskip(NEXT) | instid1(VALU_DEP_2)
	v_and_b32_e32 v94, v96, v94
	v_add_nc_u32_e32 v96, -1, v98
	s_delay_alu instid0(VALU_DEP_2) | instskip(SKIP_1) | instid1(VALU_DEP_1)
	v_cmp_eq_u32_e64 s0, v94, v99
	s_wait_alu 0xf1ff
	v_cndmask_b32_e64 v94, 0, v96, s0
	v_lshrrev_b32_e32 v96, 23, v97
	s_mov_b32 s0, exec_lo
	s_delay_alu instid0(VALU_DEP_2) | instskip(NEXT) | instid1(VALU_DEP_2)
	v_add_nc_u32_e32 v94, v94, v97
	v_xor_b32_e32 v96, 1, v96
	s_delay_alu instid0(VALU_DEP_2) | instskip(NEXT) | instid1(VALU_DEP_1)
	v_and_b32_e32 v93, 0xfffff, v94
	v_add_nc_u32_e32 v94, v93, v97
                                        ; implicit-def: $vgpr93
	s_delay_alu instid0(VALU_DEP_3)
	v_cmpx_ne_u32_e64 v95, v96
	s_wait_alu 0xfffe
	s_xor_b32 s0, exec_lo, s0
; %bb.293:
	s_delay_alu instid0(VALU_DEP_2) | instskip(SKIP_3) | instid1(VALU_DEP_2)
	v_cmp_lt_u32_e32 vcc_lo, 0xffffff, v94
	v_sub_nc_u32_e32 v93, v95, v96
	s_wait_alu 0xfffd
	v_cndmask_b32_e64 v95, 0, 1, vcc_lo
	v_add_co_ci_u32_e64 v93, null, 0, v93, vcc_lo
	s_delay_alu instid0(VALU_DEP_2)
	v_lshrrev_b32_e32 v94, v95, v94
; %bb.294:
	s_wait_alu 0xfffe
	s_and_not1_saveexec_b32 s0, s0
; %bb.295:
	s_delay_alu instid0(VALU_DEP_1)
	v_bfe_u32 v93, v94, 23, 1
; %bb.296:
	s_wait_alu 0xfffe
	s_or_b32 exec_lo, exec_lo, s0
	v_lshrrev_b32_e32 v94, 20, v94
	s_delay_alu instid0(VALU_DEP_2) | instskip(SKIP_3) | instid1(VALU_DEP_2)
	v_cmp_gt_i32_e32 vcc_lo, 16, v93
	v_min_i32_e32 v95, 15, v93
	v_lshrrev_b32_e32 v88, 24, v88
	s_wait_alu 0xfffd
	v_dual_cndmask_b32 v94, 7, v94 :: v_dual_lshlrev_b32 v95, 3, v95
	s_delay_alu instid0(VALU_DEP_2) | instskip(NEXT) | instid1(VALU_DEP_2)
	v_and_b32_e32 v88, 0x80, v88
	v_or_b32_e32 v93, v93, v94
	s_delay_alu instid0(VALU_DEP_3) | instskip(NEXT) | instid1(VALU_DEP_2)
	v_and_b32_e32 v95, 0xf8, v95
	v_cmp_ne_u32_e32 vcc_lo, 0, v93
	v_and_b32_e32 v96, 7, v94
	s_delay_alu instid0(VALU_DEP_1) | instskip(SKIP_1) | instid1(VALU_DEP_1)
	v_or3_b32 v88, v95, v88, v96
	s_wait_alu 0xfffd
	v_cndmask_b32_e32 v93, 0, v88, vcc_lo
.LBB3_297:
	s_wait_alu 0xfffe
	s_or_b32 exec_lo, exec_lo, s6
.LBB3_298:
	s_delay_alu instid0(SALU_CYCLE_1) | instskip(SKIP_2) | instid1(VALU_DEP_2)
	s_or_b32 exec_lo, exec_lo, s2
	v_and_b32_e32 v88, 0x7f800000, v89
	v_wmma_f32_16x16x16_fp8_fp8 v[80:87], v[190:191], v[150:151], v[80:87]
	v_cmp_ne_u32_e32 vcc_lo, 0x7f800000, v88
	v_mov_b32_e32 v88, 0x8000
	s_and_saveexec_b32 s2, vcc_lo
	s_cbranch_execz .LBB3_306
; %bb.299:
	v_mov_b32_e32 v88, 0
	s_mov_b32 s6, exec_lo
	v_cmpx_ne_u32_e32 0, v89
	s_cbranch_execz .LBB3_305
; %bb.300:
	v_bfe_u32 v88, v89, 23, 8
	s_delay_alu instid0(VALU_DEP_1) | instskip(SKIP_2) | instid1(VALU_DEP_2)
	v_sub_nc_u32_e32 v95, 0x78, v88
	v_cmp_gt_u32_e32 vcc_lo, 0x79, v88
	s_wait_alu 0xfffd
	v_dual_cndmask_b32 v95, 0, v95 :: v_dual_and_b32 v94, 0x7fffff, v89
	s_delay_alu instid0(VALU_DEP_1) | instskip(SKIP_4) | instid1(VALU_DEP_2)
	v_or_b32_e32 v96, 0x800000, v94
	v_cmp_eq_u32_e32 vcc_lo, 0, v88
	v_add_nc_u32_e32 v88, 0xffffff89, v88
	s_wait_alu 0xfffd
	v_cndmask_b32_e64 v95, v95, 0x77, vcc_lo
	v_cndmask_b32_e64 v88, v88, 0xffffff8a, vcc_lo
	v_cndmask_b32_e32 v94, v96, v94, vcc_lo
	s_delay_alu instid0(VALU_DEP_3) | instskip(SKIP_1) | instid1(VALU_DEP_3)
	v_lshl_add_u32 v96, 0x100000, v95, -1
	v_lshlrev_b32_e64 v99, v95, 0x80000
	v_lshrrev_b32_e32 v97, v95, v94
	v_add_nc_u32_e32 v95, v95, v88
	s_delay_alu instid0(VALU_DEP_4) | instskip(NEXT) | instid1(VALU_DEP_3)
	v_and_b32_e32 v94, v96, v94
	v_bfe_u32 v98, v97, 20, 1
	s_delay_alu instid0(VALU_DEP_2) | instskip(NEXT) | instid1(VALU_DEP_2)
	v_cmp_eq_u32_e64 s0, v94, v99
	v_add_nc_u32_e32 v96, -1, v98
	s_wait_alu 0xf1ff
	s_delay_alu instid0(VALU_DEP_1) | instskip(SKIP_2) | instid1(VALU_DEP_2)
	v_cndmask_b32_e64 v94, 0, v96, s0
	v_lshrrev_b32_e32 v96, 23, v97
	s_mov_b32 s0, exec_lo
	v_add_nc_u32_e32 v94, v94, v97
	s_delay_alu instid0(VALU_DEP_2) | instskip(NEXT) | instid1(VALU_DEP_2)
	v_xor_b32_e32 v96, 1, v96
	v_and_b32_e32 v88, 0xfffff, v94
	s_delay_alu instid0(VALU_DEP_1) | instskip(NEXT) | instid1(VALU_DEP_3)
	v_add_nc_u32_e32 v94, v88, v97
                                        ; implicit-def: $vgpr88
	v_cmpx_ne_u32_e64 v95, v96
	s_wait_alu 0xfffe
	s_xor_b32 s0, exec_lo, s0
; %bb.301:
	s_delay_alu instid0(VALU_DEP_2) | instskip(SKIP_3) | instid1(VALU_DEP_2)
	v_cmp_lt_u32_e32 vcc_lo, 0xffffff, v94
	v_sub_nc_u32_e32 v88, v95, v96
	s_wait_alu 0xfffd
	v_cndmask_b32_e64 v95, 0, 1, vcc_lo
	v_add_co_ci_u32_e64 v88, null, 0, v88, vcc_lo
	s_delay_alu instid0(VALU_DEP_2)
	v_lshrrev_b32_e32 v94, v95, v94
; %bb.302:
	s_wait_alu 0xfffe
	s_and_not1_saveexec_b32 s0, s0
; %bb.303:
	s_delay_alu instid0(VALU_DEP_1)
	v_bfe_u32 v88, v94, 23, 1
; %bb.304:
	s_wait_alu 0xfffe
	s_or_b32 exec_lo, exec_lo, s0
	v_lshrrev_b32_e32 v94, 20, v94
	s_delay_alu instid0(VALU_DEP_2) | instskip(SKIP_3) | instid1(VALU_DEP_2)
	v_cmp_gt_i32_e32 vcc_lo, 16, v88
	v_min_i32_e32 v95, 15, v88
	v_lshrrev_b32_e32 v89, 24, v89
	s_wait_alu 0xfffd
	v_dual_cndmask_b32 v94, 7, v94 :: v_dual_lshlrev_b32 v95, 3, v95
	s_delay_alu instid0(VALU_DEP_2) | instskip(NEXT) | instid1(VALU_DEP_2)
	v_and_b32_e32 v89, 0x80, v89
	v_or_b32_e32 v88, v88, v94
	v_and_b32_e32 v96, 7, v94
	s_delay_alu instid0(VALU_DEP_2) | instskip(SKIP_1) | instid1(VALU_DEP_1)
	v_cmp_ne_u32_e32 vcc_lo, 0, v88
	v_and_b32_e32 v95, 0xf8, v95
	v_or3_b32 v89, v89, v95, v96
	s_delay_alu instid0(VALU_DEP_1) | instskip(SKIP_1) | instid1(VALU_DEP_1)
	v_lshlrev_b32_e32 v89, 8, v89
	s_wait_alu 0xfffd
	v_cndmask_b32_e32 v88, 0, v89, vcc_lo
.LBB3_305:
	s_wait_alu 0xfffe
	s_or_b32 exec_lo, exec_lo, s6
.LBB3_306:
	s_delay_alu instid0(SALU_CYCLE_1) | instskip(SKIP_2) | instid1(VALU_DEP_2)
	s_or_b32 exec_lo, exec_lo, s2
	v_and_b32_e32 v89, 0x7f800000, v90
	v_wmma_f32_16x16x16_fp8_fp8 v[80:87], v[184:185], v[144:145], v[80:87]
	v_cmp_ne_u32_e32 vcc_lo, 0x7f800000, v89
	v_mov_b32_e32 v89, 0x800000
	s_and_saveexec_b32 s2, vcc_lo
	s_cbranch_execz .LBB3_314
; %bb.307:
	v_mov_b32_e32 v89, 0
	s_mov_b32 s6, exec_lo
	v_cmpx_ne_u32_e32 0, v90
	s_cbranch_execz .LBB3_313
; %bb.308:
	v_bfe_u32 v89, v90, 23, 8
	s_delay_alu instid0(VALU_DEP_1) | instskip(SKIP_2) | instid1(VALU_DEP_2)
	v_sub_nc_u32_e32 v95, 0x78, v89
	v_cmp_gt_u32_e32 vcc_lo, 0x79, v89
	s_wait_alu 0xfffd
	v_dual_cndmask_b32 v95, 0, v95 :: v_dual_and_b32 v94, 0x7fffff, v90
	s_delay_alu instid0(VALU_DEP_1) | instskip(SKIP_2) | instid1(VALU_DEP_2)
	v_or_b32_e32 v96, 0x800000, v94
	v_cmp_eq_u32_e32 vcc_lo, 0, v89
	s_wait_alu 0xfffd
	v_dual_cndmask_b32 v94, v96, v94 :: v_dual_add_nc_u32 v89, 0xffffff89, v89
	v_cndmask_b32_e64 v95, v95, 0x77, vcc_lo
	s_delay_alu instid0(VALU_DEP_2) | instskip(NEXT) | instid1(VALU_DEP_2)
	v_cndmask_b32_e64 v89, v89, 0xffffff8a, vcc_lo
	v_lshrrev_b32_e32 v97, v95, v94
	v_lshl_add_u32 v96, 0x100000, v95, -1
	v_lshlrev_b32_e64 v99, v95, 0x80000
	s_delay_alu instid0(VALU_DEP_4) | instskip(NEXT) | instid1(VALU_DEP_4)
	v_add_nc_u32_e32 v95, v95, v89
	v_bfe_u32 v98, v97, 20, 1
	s_delay_alu instid0(VALU_DEP_4) | instskip(NEXT) | instid1(VALU_DEP_2)
	v_and_b32_e32 v94, v96, v94
	v_add_nc_u32_e32 v96, -1, v98
	s_delay_alu instid0(VALU_DEP_2) | instskip(SKIP_1) | instid1(VALU_DEP_1)
	v_cmp_eq_u32_e64 s0, v94, v99
	s_wait_alu 0xf1ff
	v_cndmask_b32_e64 v94, 0, v96, s0
	v_lshrrev_b32_e32 v96, 23, v97
	s_mov_b32 s0, exec_lo
	s_delay_alu instid0(VALU_DEP_2) | instskip(NEXT) | instid1(VALU_DEP_2)
	v_add_nc_u32_e32 v94, v94, v97
	v_xor_b32_e32 v96, 1, v96
	s_delay_alu instid0(VALU_DEP_2) | instskip(NEXT) | instid1(VALU_DEP_1)
	v_and_b32_e32 v89, 0xfffff, v94
	v_add_nc_u32_e32 v94, v89, v97
                                        ; implicit-def: $vgpr89
	s_delay_alu instid0(VALU_DEP_3)
	v_cmpx_ne_u32_e64 v95, v96
	s_wait_alu 0xfffe
	s_xor_b32 s0, exec_lo, s0
; %bb.309:
	s_delay_alu instid0(VALU_DEP_2) | instskip(SKIP_3) | instid1(VALU_DEP_2)
	v_cmp_lt_u32_e32 vcc_lo, 0xffffff, v94
	v_sub_nc_u32_e32 v89, v95, v96
	s_wait_alu 0xfffd
	v_cndmask_b32_e64 v95, 0, 1, vcc_lo
	v_add_co_ci_u32_e64 v89, null, 0, v89, vcc_lo
	s_delay_alu instid0(VALU_DEP_2)
	v_lshrrev_b32_e32 v94, v95, v94
; %bb.310:
	s_wait_alu 0xfffe
	s_and_not1_saveexec_b32 s0, s0
; %bb.311:
	s_delay_alu instid0(VALU_DEP_1)
	v_bfe_u32 v89, v94, 23, 1
; %bb.312:
	s_wait_alu 0xfffe
	s_or_b32 exec_lo, exec_lo, s0
	v_lshrrev_b32_e32 v94, 20, v94
	s_delay_alu instid0(VALU_DEP_2) | instskip(SKIP_3) | instid1(VALU_DEP_3)
	v_min_i32_e32 v95, 15, v89
	v_cmp_gt_i32_e32 vcc_lo, 16, v89
	v_lshrrev_b32_e32 v90, 24, v90
	s_wait_alu 0xfffd
	v_dual_cndmask_b32 v94, 7, v94 :: v_dual_lshlrev_b32 v95, 3, v95
	s_delay_alu instid0(VALU_DEP_2) | instskip(NEXT) | instid1(VALU_DEP_2)
	v_and_b32_e32 v90, 0x80, v90
	v_and_b32_e32 v95, 0xf8, v95
	s_delay_alu instid0(VALU_DEP_3) | instskip(SKIP_1) | instid1(VALU_DEP_2)
	v_and_b32_e32 v96, 7, v94
	v_or_b32_e32 v89, v89, v94
	v_or3_b32 v90, v90, v95, v96
	s_delay_alu instid0(VALU_DEP_2) | instskip(NEXT) | instid1(VALU_DEP_2)
	v_cmp_ne_u32_e32 vcc_lo, 0, v89
	v_lshlrev_b32_e32 v90, 16, v90
	s_wait_alu 0xfffd
	s_delay_alu instid0(VALU_DEP_1)
	v_cndmask_b32_e32 v89, 0, v90, vcc_lo
.LBB3_313:
	s_wait_alu 0xfffe
	s_or_b32 exec_lo, exec_lo, s6
.LBB3_314:
	s_delay_alu instid0(SALU_CYCLE_1) | instskip(SKIP_2) | instid1(VALU_DEP_2)
	s_or_b32 exec_lo, exec_lo, s2
	v_and_b32_e32 v90, 0x7f800000, v91
	v_wmma_f32_16x16x16_fp8_fp8 v[80:87], v[186:187], v[146:147], v[80:87]
	v_cmp_ne_u32_e32 vcc_lo, 0x7f800000, v90
	v_bfrev_b32_e32 v90, 1
	s_and_saveexec_b32 s2, vcc_lo
	s_cbranch_execz .LBB3_322
; %bb.315:
	v_mov_b32_e32 v90, 0
	s_mov_b32 s6, exec_lo
	v_cmpx_ne_u32_e32 0, v91
	s_cbranch_execz .LBB3_321
; %bb.316:
	v_bfe_u32 v90, v91, 23, 8
	v_and_b32_e32 v94, 0x7fffff, v91
	s_delay_alu instid0(VALU_DEP_2) | instskip(SKIP_1) | instid1(VALU_DEP_3)
	v_sub_nc_u32_e32 v95, 0x78, v90
	v_cmp_gt_u32_e32 vcc_lo, 0x79, v90
	v_or_b32_e32 v96, 0x800000, v94
	s_wait_alu 0xfffd
	s_delay_alu instid0(VALU_DEP_3)
	v_cndmask_b32_e32 v95, 0, v95, vcc_lo
	v_cmp_eq_u32_e32 vcc_lo, 0, v90
	v_add_nc_u32_e32 v90, 0xffffff89, v90
	s_wait_alu 0xfffd
	v_cndmask_b32_e32 v94, v96, v94, vcc_lo
	v_cndmask_b32_e64 v95, v95, 0x77, vcc_lo
	s_delay_alu instid0(VALU_DEP_3) | instskip(NEXT) | instid1(VALU_DEP_2)
	v_cndmask_b32_e64 v90, v90, 0xffffff8a, vcc_lo
	v_lshrrev_b32_e32 v97, v95, v94
	v_lshl_add_u32 v96, 0x100000, v95, -1
	v_lshlrev_b32_e64 v99, v95, 0x80000
	s_delay_alu instid0(VALU_DEP_4) | instskip(NEXT) | instid1(VALU_DEP_4)
	v_add_nc_u32_e32 v95, v95, v90
	v_bfe_u32 v98, v97, 20, 1
	s_delay_alu instid0(VALU_DEP_4) | instskip(NEXT) | instid1(VALU_DEP_2)
	v_and_b32_e32 v94, v96, v94
	v_add_nc_u32_e32 v96, -1, v98
	s_delay_alu instid0(VALU_DEP_2) | instskip(SKIP_1) | instid1(VALU_DEP_1)
	v_cmp_eq_u32_e64 s0, v94, v99
	s_wait_alu 0xf1ff
	v_cndmask_b32_e64 v94, 0, v96, s0
	v_lshrrev_b32_e32 v96, 23, v97
	s_mov_b32 s0, exec_lo
	s_delay_alu instid0(VALU_DEP_2) | instskip(NEXT) | instid1(VALU_DEP_2)
	v_add_nc_u32_e32 v94, v94, v97
	v_xor_b32_e32 v96, 1, v96
	s_delay_alu instid0(VALU_DEP_2) | instskip(NEXT) | instid1(VALU_DEP_1)
	v_and_b32_e32 v90, 0xfffff, v94
	v_add_nc_u32_e32 v94, v90, v97
                                        ; implicit-def: $vgpr90
	s_delay_alu instid0(VALU_DEP_3)
	v_cmpx_ne_u32_e64 v95, v96
	s_wait_alu 0xfffe
	s_xor_b32 s0, exec_lo, s0
; %bb.317:
	s_delay_alu instid0(VALU_DEP_2) | instskip(SKIP_3) | instid1(VALU_DEP_2)
	v_cmp_lt_u32_e32 vcc_lo, 0xffffff, v94
	v_sub_nc_u32_e32 v90, v95, v96
	s_wait_alu 0xfffd
	v_cndmask_b32_e64 v95, 0, 1, vcc_lo
	v_add_co_ci_u32_e64 v90, null, 0, v90, vcc_lo
	s_delay_alu instid0(VALU_DEP_2)
	v_lshrrev_b32_e32 v94, v95, v94
; %bb.318:
	s_wait_alu 0xfffe
	s_and_not1_saveexec_b32 s0, s0
; %bb.319:
	s_delay_alu instid0(VALU_DEP_1)
	v_bfe_u32 v90, v94, 23, 1
; %bb.320:
	s_wait_alu 0xfffe
	s_or_b32 exec_lo, exec_lo, s0
	v_lshrrev_b32_e32 v94, 20, v94
	s_delay_alu instid0(VALU_DEP_2) | instskip(SKIP_3) | instid1(VALU_DEP_2)
	v_cmp_gt_i32_e32 vcc_lo, 16, v90
	v_lshrrev_b32_e32 v91, 24, v91
	v_min_i32_e32 v95, 15, v90
	s_wait_alu 0xfffd
	v_dual_cndmask_b32 v94, 7, v94 :: v_dual_and_b32 v91, 0x80, v91
	s_delay_alu instid0(VALU_DEP_2) | instskip(NEXT) | instid1(VALU_DEP_2)
	v_lshlrev_b32_e32 v95, 3, v95
	v_and_b32_e32 v96, 7, v94
	v_or_b32_e32 v90, v90, v94
	s_delay_alu instid0(VALU_DEP_2) | instskip(NEXT) | instid1(VALU_DEP_2)
	v_or3_b32 v91, v91, v95, v96
	v_cmp_ne_u32_e32 vcc_lo, 0, v90
	s_delay_alu instid0(VALU_DEP_2) | instskip(SKIP_1) | instid1(VALU_DEP_1)
	v_lshlrev_b32_e32 v91, 24, v91
	s_wait_alu 0xfffd
	v_cndmask_b32_e32 v90, 0, v91, vcc_lo
.LBB3_321:
	s_wait_alu 0xfffe
	s_or_b32 exec_lo, exec_lo, s6
.LBB3_322:
	s_delay_alu instid0(SALU_CYCLE_1) | instskip(SKIP_3) | instid1(VALU_DEP_1)
	s_or_b32 exec_lo, exec_lo, s2
	v_or_b32_e32 v88, v88, v93
	s_mov_b32 s0, s14
	s_mov_b32 s2, s5
	v_or3_b32 v88, v89, v88, v90
	buffer_store_b32 v88, v92, s[0:3], null offen offset:4
	s_wait_dscnt 0x0
	s_barrier_signal -1
	s_barrier_wait -1
	ds_store_2addr_stride64_b32 v209, v80, v81 offset1:1
	ds_store_2addr_stride64_b32 v209, v82, v83 offset0:2 offset1:3
	ds_store_2addr_stride64_b32 v209, v84, v85 offset0:4 offset1:5
	;; [unrolled: 1-line block ×3, first 2 shown]
	s_wait_dscnt 0x0
	s_barrier_signal -1
	s_barrier_wait -1
	ds_load_b128 v[80:83], v208
	s_wait_dscnt 0x0
	v_and_b32_e32 v84, 0x7f800000, v80
	s_delay_alu instid0(VALU_DEP_1)
	v_cmp_ne_u32_e32 vcc_lo, 0x7f800000, v84
	v_mov_b32_e32 v84, 0x80
	s_and_saveexec_b32 s2, vcc_lo
	s_cbranch_execz .LBB3_330
; %bb.323:
	v_mov_b32_e32 v84, 0
	s_mov_b32 s6, exec_lo
	v_cmpx_ne_u32_e32 0, v80
	s_cbranch_execz .LBB3_329
; %bb.324:
	v_bfe_u32 v84, v80, 23, 8
	s_delay_alu instid0(VALU_DEP_1) | instskip(SKIP_2) | instid1(VALU_DEP_2)
	v_sub_nc_u32_e32 v86, 0x78, v84
	v_cmp_gt_u32_e32 vcc_lo, 0x79, v84
	s_wait_alu 0xfffd
	v_dual_cndmask_b32 v86, 0, v86 :: v_dual_and_b32 v85, 0x7fffff, v80
	s_delay_alu instid0(VALU_DEP_1) | instskip(SKIP_2) | instid1(VALU_DEP_2)
	v_or_b32_e32 v87, 0x800000, v85
	v_cmp_eq_u32_e32 vcc_lo, 0, v84
	s_wait_alu 0xfffd
	v_dual_cndmask_b32 v85, v87, v85 :: v_dual_add_nc_u32 v84, 0xffffff89, v84
	v_cndmask_b32_e64 v86, v86, 0x77, vcc_lo
	s_delay_alu instid0(VALU_DEP_2) | instskip(NEXT) | instid1(VALU_DEP_2)
	v_cndmask_b32_e64 v84, v84, 0xffffff8a, vcc_lo
	v_lshrrev_b32_e32 v88, v86, v85
	v_lshl_add_u32 v87, 0x100000, v86, -1
	v_lshlrev_b32_e64 v90, v86, 0x80000
	s_delay_alu instid0(VALU_DEP_4) | instskip(NEXT) | instid1(VALU_DEP_4)
	v_add_nc_u32_e32 v86, v86, v84
	v_bfe_u32 v89, v88, 20, 1
	s_delay_alu instid0(VALU_DEP_4) | instskip(NEXT) | instid1(VALU_DEP_2)
	v_and_b32_e32 v85, v87, v85
	v_add_nc_u32_e32 v87, -1, v89
	s_delay_alu instid0(VALU_DEP_2) | instskip(SKIP_1) | instid1(VALU_DEP_1)
	v_cmp_eq_u32_e64 s0, v85, v90
	s_wait_alu 0xf1ff
	v_cndmask_b32_e64 v85, 0, v87, s0
	v_lshrrev_b32_e32 v87, 23, v88
	s_mov_b32 s0, exec_lo
	s_delay_alu instid0(VALU_DEP_2) | instskip(NEXT) | instid1(VALU_DEP_2)
	v_add_nc_u32_e32 v85, v85, v88
	v_xor_b32_e32 v87, 1, v87
	s_delay_alu instid0(VALU_DEP_2) | instskip(NEXT) | instid1(VALU_DEP_1)
	v_and_b32_e32 v84, 0xfffff, v85
	v_add_nc_u32_e32 v85, v84, v88
                                        ; implicit-def: $vgpr84
	s_delay_alu instid0(VALU_DEP_3)
	v_cmpx_ne_u32_e64 v86, v87
	s_wait_alu 0xfffe
	s_xor_b32 s0, exec_lo, s0
; %bb.325:
	s_delay_alu instid0(VALU_DEP_2) | instskip(SKIP_3) | instid1(VALU_DEP_2)
	v_cmp_lt_u32_e32 vcc_lo, 0xffffff, v85
	v_sub_nc_u32_e32 v84, v86, v87
	s_wait_alu 0xfffd
	v_cndmask_b32_e64 v86, 0, 1, vcc_lo
	v_add_co_ci_u32_e64 v84, null, 0, v84, vcc_lo
	s_delay_alu instid0(VALU_DEP_2)
	v_lshrrev_b32_e32 v85, v86, v85
; %bb.326:
	s_wait_alu 0xfffe
	s_and_not1_saveexec_b32 s0, s0
; %bb.327:
	s_delay_alu instid0(VALU_DEP_1)
	v_bfe_u32 v84, v85, 23, 1
; %bb.328:
	s_wait_alu 0xfffe
	s_or_b32 exec_lo, exec_lo, s0
	v_lshrrev_b32_e32 v85, 20, v85
	s_delay_alu instid0(VALU_DEP_2) | instskip(SKIP_3) | instid1(VALU_DEP_2)
	v_cmp_gt_i32_e32 vcc_lo, 16, v84
	v_min_i32_e32 v86, 15, v84
	v_lshrrev_b32_e32 v80, 24, v80
	s_wait_alu 0xfffd
	v_dual_cndmask_b32 v85, 7, v85 :: v_dual_lshlrev_b32 v86, 3, v86
	s_delay_alu instid0(VALU_DEP_2) | instskip(NEXT) | instid1(VALU_DEP_2)
	v_and_b32_e32 v80, 0x80, v80
	v_or_b32_e32 v84, v84, v85
	s_delay_alu instid0(VALU_DEP_3) | instskip(NEXT) | instid1(VALU_DEP_2)
	v_and_b32_e32 v86, 0xf8, v86
	v_cmp_ne_u32_e32 vcc_lo, 0, v84
	v_and_b32_e32 v87, 7, v85
	s_delay_alu instid0(VALU_DEP_1) | instskip(SKIP_1) | instid1(VALU_DEP_1)
	v_or3_b32 v80, v86, v80, v87
	s_wait_alu 0xfffd
	v_cndmask_b32_e32 v84, 0, v80, vcc_lo
.LBB3_329:
	s_wait_alu 0xfffe
	s_or_b32 exec_lo, exec_lo, s6
.LBB3_330:
	s_delay_alu instid0(SALU_CYCLE_1) | instskip(SKIP_3) | instid1(VALU_DEP_2)
	s_or_b32 exec_lo, exec_lo, s2
	v_and_b32_e32 v80, 0x7f800000, v81
	v_mov_b32_e32 v85, 0x8000
	s_mov_b32 s2, exec_lo
	v_cmpx_ne_u32_e32 0x7f800000, v80
	s_cbranch_execz .LBB3_338
; %bb.331:
	v_mov_b32_e32 v85, 0
	s_mov_b32 s6, exec_lo
	v_cmpx_ne_u32_e32 0, v81
	s_cbranch_execz .LBB3_337
; %bb.332:
	v_bfe_u32 v80, v81, 23, 8
	s_delay_alu instid0(VALU_DEP_1) | instskip(SKIP_2) | instid1(VALU_DEP_2)
	v_sub_nc_u32_e32 v86, 0x78, v80
	v_cmp_gt_u32_e32 vcc_lo, 0x79, v80
	s_wait_alu 0xfffd
	v_dual_cndmask_b32 v86, 0, v86 :: v_dual_and_b32 v85, 0x7fffff, v81
	s_delay_alu instid0(VALU_DEP_1) | instskip(SKIP_2) | instid1(VALU_DEP_2)
	v_or_b32_e32 v87, 0x800000, v85
	v_cmp_eq_u32_e32 vcc_lo, 0, v80
	s_wait_alu 0xfffd
	v_dual_cndmask_b32 v85, v87, v85 :: v_dual_add_nc_u32 v80, 0xffffff89, v80
	v_cndmask_b32_e64 v86, v86, 0x77, vcc_lo
	s_delay_alu instid0(VALU_DEP_2) | instskip(NEXT) | instid1(VALU_DEP_2)
	v_cndmask_b32_e64 v80, v80, 0xffffff8a, vcc_lo
	v_lshrrev_b32_e32 v88, v86, v85
	v_lshl_add_u32 v87, 0x100000, v86, -1
	v_lshlrev_b32_e64 v90, v86, 0x80000
	s_delay_alu instid0(VALU_DEP_4) | instskip(NEXT) | instid1(VALU_DEP_4)
	v_add_nc_u32_e32 v86, v86, v80
	v_bfe_u32 v89, v88, 20, 1
	s_delay_alu instid0(VALU_DEP_4) | instskip(NEXT) | instid1(VALU_DEP_2)
	v_and_b32_e32 v85, v87, v85
	v_add_nc_u32_e32 v87, -1, v89
	s_delay_alu instid0(VALU_DEP_2) | instskip(SKIP_1) | instid1(VALU_DEP_1)
	v_cmp_eq_u32_e64 s0, v85, v90
	s_wait_alu 0xf1ff
	v_cndmask_b32_e64 v85, 0, v87, s0
	v_lshrrev_b32_e32 v87, 23, v88
	s_mov_b32 s0, exec_lo
	s_delay_alu instid0(VALU_DEP_2) | instskip(NEXT) | instid1(VALU_DEP_2)
	v_add_nc_u32_e32 v85, v85, v88
	v_xor_b32_e32 v87, 1, v87
	s_delay_alu instid0(VALU_DEP_2) | instskip(NEXT) | instid1(VALU_DEP_1)
	v_and_b32_e32 v80, 0xfffff, v85
	v_add_nc_u32_e32 v85, v80, v88
                                        ; implicit-def: $vgpr80
	s_delay_alu instid0(VALU_DEP_3)
	v_cmpx_ne_u32_e64 v86, v87
	s_wait_alu 0xfffe
	s_xor_b32 s0, exec_lo, s0
; %bb.333:
	s_delay_alu instid0(VALU_DEP_2) | instskip(SKIP_3) | instid1(VALU_DEP_2)
	v_cmp_lt_u32_e32 vcc_lo, 0xffffff, v85
	v_sub_nc_u32_e32 v80, v86, v87
	s_wait_alu 0xfffd
	v_cndmask_b32_e64 v86, 0, 1, vcc_lo
	v_add_co_ci_u32_e64 v80, null, 0, v80, vcc_lo
	s_delay_alu instid0(VALU_DEP_2)
	v_lshrrev_b32_e32 v85, v86, v85
; %bb.334:
	s_wait_alu 0xfffe
	s_and_not1_saveexec_b32 s0, s0
; %bb.335:
	s_delay_alu instid0(VALU_DEP_1)
	v_bfe_u32 v80, v85, 23, 1
; %bb.336:
	s_wait_alu 0xfffe
	s_or_b32 exec_lo, exec_lo, s0
	v_lshrrev_b32_e32 v85, 20, v85
	s_delay_alu instid0(VALU_DEP_2) | instskip(SKIP_3) | instid1(VALU_DEP_2)
	v_cmp_gt_i32_e32 vcc_lo, 16, v80
	v_min_i32_e32 v86, 15, v80
	v_lshrrev_b32_e32 v81, 24, v81
	s_wait_alu 0xfffd
	v_dual_cndmask_b32 v85, 7, v85 :: v_dual_lshlrev_b32 v86, 3, v86
	s_delay_alu instid0(VALU_DEP_2) | instskip(NEXT) | instid1(VALU_DEP_2)
	v_and_b32_e32 v81, 0x80, v81
	v_or_b32_e32 v80, v80, v85
	v_and_b32_e32 v87, 7, v85
	s_delay_alu instid0(VALU_DEP_2) | instskip(SKIP_1) | instid1(VALU_DEP_1)
	v_cmp_ne_u32_e32 vcc_lo, 0, v80
	v_and_b32_e32 v86, 0xf8, v86
	v_or3_b32 v81, v81, v86, v87
	s_delay_alu instid0(VALU_DEP_1) | instskip(SKIP_1) | instid1(VALU_DEP_1)
	v_lshlrev_b32_e32 v81, 8, v81
	s_wait_alu 0xfffd
	v_cndmask_b32_e32 v85, 0, v81, vcc_lo
.LBB3_337:
	s_wait_alu 0xfffe
	s_or_b32 exec_lo, exec_lo, s6
.LBB3_338:
	s_delay_alu instid0(SALU_CYCLE_1) | instskip(SKIP_3) | instid1(VALU_DEP_2)
	s_or_b32 exec_lo, exec_lo, s2
	v_and_b32_e32 v80, 0x7f800000, v82
	v_mov_b32_e32 v86, 0x800000
	s_mov_b32 s2, exec_lo
	v_cmpx_ne_u32_e32 0x7f800000, v80
	s_cbranch_execz .LBB3_346
; %bb.339:
	v_mov_b32_e32 v86, 0
	s_mov_b32 s6, exec_lo
	v_cmpx_ne_u32_e32 0, v82
	s_cbranch_execz .LBB3_345
; %bb.340:
	v_bfe_u32 v80, v82, 23, 8
	v_and_b32_e32 v81, 0x7fffff, v82
	s_delay_alu instid0(VALU_DEP_2) | instskip(SKIP_1) | instid1(VALU_DEP_3)
	v_sub_nc_u32_e32 v86, 0x78, v80
	v_cmp_gt_u32_e32 vcc_lo, 0x79, v80
	v_or_b32_e32 v87, 0x800000, v81
	s_wait_alu 0xfffd
	s_delay_alu instid0(VALU_DEP_3) | instskip(SKIP_3) | instid1(VALU_DEP_3)
	v_cndmask_b32_e32 v86, 0, v86, vcc_lo
	v_cmp_eq_u32_e32 vcc_lo, 0, v80
	s_wait_alu 0xfffd
	v_dual_cndmask_b32 v81, v87, v81 :: v_dual_add_nc_u32 v80, 0xffffff89, v80
	v_cndmask_b32_e64 v86, v86, 0x77, vcc_lo
	s_delay_alu instid0(VALU_DEP_2) | instskip(NEXT) | instid1(VALU_DEP_2)
	v_cndmask_b32_e64 v80, v80, 0xffffff8a, vcc_lo
	v_lshrrev_b32_e32 v88, v86, v81
	v_lshl_add_u32 v87, 0x100000, v86, -1
	v_lshlrev_b32_e64 v90, v86, 0x80000
	s_delay_alu instid0(VALU_DEP_4) | instskip(NEXT) | instid1(VALU_DEP_4)
	v_add_nc_u32_e32 v86, v86, v80
	v_bfe_u32 v89, v88, 20, 1
	s_delay_alu instid0(VALU_DEP_4) | instskip(NEXT) | instid1(VALU_DEP_2)
	v_and_b32_e32 v81, v87, v81
	v_add_nc_u32_e32 v87, -1, v89
	s_delay_alu instid0(VALU_DEP_2) | instskip(SKIP_1) | instid1(VALU_DEP_1)
	v_cmp_eq_u32_e64 s0, v81, v90
	s_wait_alu 0xf1ff
	v_cndmask_b32_e64 v81, 0, v87, s0
	v_lshrrev_b32_e32 v87, 23, v88
	s_mov_b32 s0, exec_lo
	s_delay_alu instid0(VALU_DEP_2) | instskip(NEXT) | instid1(VALU_DEP_2)
	v_add_nc_u32_e32 v81, v81, v88
	v_xor_b32_e32 v87, 1, v87
	s_delay_alu instid0(VALU_DEP_2) | instskip(NEXT) | instid1(VALU_DEP_1)
	v_and_b32_e32 v80, 0xfffff, v81
	v_add_nc_u32_e32 v81, v80, v88
                                        ; implicit-def: $vgpr80
	s_delay_alu instid0(VALU_DEP_3)
	v_cmpx_ne_u32_e64 v86, v87
	s_wait_alu 0xfffe
	s_xor_b32 s0, exec_lo, s0
; %bb.341:
	s_delay_alu instid0(VALU_DEP_2) | instskip(SKIP_3) | instid1(VALU_DEP_2)
	v_cmp_lt_u32_e32 vcc_lo, 0xffffff, v81
	v_sub_nc_u32_e32 v80, v86, v87
	s_wait_alu 0xfffd
	v_cndmask_b32_e64 v86, 0, 1, vcc_lo
	v_add_co_ci_u32_e64 v80, null, 0, v80, vcc_lo
	s_delay_alu instid0(VALU_DEP_2)
	v_lshrrev_b32_e32 v81, v86, v81
; %bb.342:
	s_wait_alu 0xfffe
	s_and_not1_saveexec_b32 s0, s0
; %bb.343:
	s_delay_alu instid0(VALU_DEP_1)
	v_bfe_u32 v80, v81, 23, 1
; %bb.344:
	s_wait_alu 0xfffe
	s_or_b32 exec_lo, exec_lo, s0
	v_lshrrev_b32_e32 v81, 20, v81
	s_delay_alu instid0(VALU_DEP_2) | instskip(SKIP_3) | instid1(VALU_DEP_3)
	v_min_i32_e32 v86, 15, v80
	v_cmp_gt_i32_e32 vcc_lo, 16, v80
	v_lshrrev_b32_e32 v82, 24, v82
	s_wait_alu 0xfffd
	v_dual_cndmask_b32 v81, 7, v81 :: v_dual_lshlrev_b32 v86, 3, v86
	s_delay_alu instid0(VALU_DEP_2) | instskip(NEXT) | instid1(VALU_DEP_2)
	v_and_b32_e32 v82, 0x80, v82
	v_and_b32_e32 v86, 0xf8, v86
	s_delay_alu instid0(VALU_DEP_3) | instskip(SKIP_1) | instid1(VALU_DEP_2)
	v_and_b32_e32 v87, 7, v81
	v_or_b32_e32 v80, v80, v81
	v_or3_b32 v82, v82, v86, v87
	s_delay_alu instid0(VALU_DEP_2) | instskip(NEXT) | instid1(VALU_DEP_2)
	v_cmp_ne_u32_e32 vcc_lo, 0, v80
	v_lshlrev_b32_e32 v81, 16, v82
	s_wait_alu 0xfffd
	s_delay_alu instid0(VALU_DEP_1)
	v_cndmask_b32_e32 v86, 0, v81, vcc_lo
.LBB3_345:
	s_wait_alu 0xfffe
	s_or_b32 exec_lo, exec_lo, s6
.LBB3_346:
	s_delay_alu instid0(SALU_CYCLE_1) | instskip(SKIP_3) | instid1(VALU_DEP_2)
	s_or_b32 exec_lo, exec_lo, s2
	v_and_b32_e32 v80, 0x7f800000, v83
	v_bfrev_b32_e32 v87, 1
	s_mov_b32 s2, exec_lo
	v_cmpx_ne_u32_e32 0x7f800000, v80
	s_cbranch_execz .LBB3_354
; %bb.347:
	v_mov_b32_e32 v87, 0
	s_mov_b32 s6, exec_lo
	v_cmpx_ne_u32_e32 0, v83
	s_cbranch_execz .LBB3_353
; %bb.348:
	v_bfe_u32 v80, v83, 23, 8
	s_delay_alu instid0(VALU_DEP_1) | instskip(SKIP_2) | instid1(VALU_DEP_2)
	v_sub_nc_u32_e32 v82, 0x78, v80
	v_cmp_gt_u32_e32 vcc_lo, 0x79, v80
	s_wait_alu 0xfffd
	v_dual_cndmask_b32 v82, 0, v82 :: v_dual_and_b32 v81, 0x7fffff, v83
	s_delay_alu instid0(VALU_DEP_1) | instskip(SKIP_2) | instid1(VALU_DEP_2)
	v_or_b32_e32 v87, 0x800000, v81
	v_cmp_eq_u32_e32 vcc_lo, 0, v80
	s_wait_alu 0xfffd
	v_dual_cndmask_b32 v81, v87, v81 :: v_dual_add_nc_u32 v80, 0xffffff89, v80
	v_cndmask_b32_e64 v82, v82, 0x77, vcc_lo
	s_delay_alu instid0(VALU_DEP_2) | instskip(NEXT) | instid1(VALU_DEP_2)
	v_cndmask_b32_e64 v80, v80, 0xffffff8a, vcc_lo
	v_lshrrev_b32_e32 v88, v82, v81
	v_lshl_add_u32 v87, 0x100000, v82, -1
	v_lshlrev_b32_e64 v90, v82, 0x80000
	s_delay_alu instid0(VALU_DEP_4) | instskip(NEXT) | instid1(VALU_DEP_4)
	v_add_nc_u32_e32 v82, v82, v80
	v_bfe_u32 v89, v88, 20, 1
	s_delay_alu instid0(VALU_DEP_4) | instskip(NEXT) | instid1(VALU_DEP_2)
	v_and_b32_e32 v81, v87, v81
	v_add_nc_u32_e32 v87, -1, v89
	s_delay_alu instid0(VALU_DEP_2) | instskip(SKIP_1) | instid1(VALU_DEP_1)
	v_cmp_eq_u32_e64 s0, v81, v90
	s_wait_alu 0xf1ff
	v_cndmask_b32_e64 v81, 0, v87, s0
	v_lshrrev_b32_e32 v87, 23, v88
	s_mov_b32 s0, exec_lo
	s_delay_alu instid0(VALU_DEP_2) | instskip(NEXT) | instid1(VALU_DEP_2)
	v_add_nc_u32_e32 v81, v81, v88
	v_xor_b32_e32 v87, 1, v87
	s_delay_alu instid0(VALU_DEP_2) | instskip(NEXT) | instid1(VALU_DEP_1)
	v_and_b32_e32 v80, 0xfffff, v81
	v_add_nc_u32_e32 v81, v80, v88
                                        ; implicit-def: $vgpr80
	s_delay_alu instid0(VALU_DEP_3)
	v_cmpx_ne_u32_e64 v82, v87
	s_wait_alu 0xfffe
	s_xor_b32 s0, exec_lo, s0
; %bb.349:
	s_delay_alu instid0(VALU_DEP_2) | instskip(SKIP_3) | instid1(VALU_DEP_2)
	v_cmp_lt_u32_e32 vcc_lo, 0xffffff, v81
	v_sub_nc_u32_e32 v80, v82, v87
	s_wait_alu 0xfffd
	v_cndmask_b32_e64 v82, 0, 1, vcc_lo
	v_add_co_ci_u32_e64 v80, null, 0, v80, vcc_lo
	s_delay_alu instid0(VALU_DEP_2)
	v_lshrrev_b32_e32 v81, v82, v81
; %bb.350:
	s_wait_alu 0xfffe
	s_and_not1_saveexec_b32 s0, s0
; %bb.351:
	s_delay_alu instid0(VALU_DEP_1)
	v_bfe_u32 v80, v81, 23, 1
; %bb.352:
	s_wait_alu 0xfffe
	s_or_b32 exec_lo, exec_lo, s0
	v_lshrrev_b32_e32 v81, 20, v81
	s_delay_alu instid0(VALU_DEP_2) | instskip(SKIP_3) | instid1(VALU_DEP_2)
	v_cmp_gt_i32_e32 vcc_lo, 16, v80
	v_lshrrev_b32_e32 v82, 24, v83
	v_min_i32_e32 v83, 15, v80
	s_wait_alu 0xfffd
	v_dual_cndmask_b32 v81, 7, v81 :: v_dual_and_b32 v82, 0x80, v82
	s_delay_alu instid0(VALU_DEP_2) | instskip(NEXT) | instid1(VALU_DEP_2)
	v_lshlrev_b32_e32 v83, 3, v83
	v_and_b32_e32 v87, 7, v81
	v_or_b32_e32 v80, v80, v81
	s_delay_alu instid0(VALU_DEP_2) | instskip(NEXT) | instid1(VALU_DEP_2)
	v_or3_b32 v82, v82, v83, v87
	v_cmp_ne_u32_e32 vcc_lo, 0, v80
	s_delay_alu instid0(VALU_DEP_2) | instskip(SKIP_1) | instid1(VALU_DEP_1)
	v_lshlrev_b32_e32 v81, 24, v82
	s_wait_alu 0xfffd
	v_cndmask_b32_e32 v87, 0, v81, vcc_lo
.LBB3_353:
	s_wait_alu 0xfffe
	s_or_b32 exec_lo, exec_lo, s6
.LBB3_354:
	s_delay_alu instid0(SALU_CYCLE_1)
	s_or_b32 exec_lo, exec_lo, s2
	ds_load_b128 v[80:83], v208 offset:16
	v_or_b32_e32 v84, v85, v84
	v_wmma_f32_16x16x16_fp8_fp8 v[72:79], v[180:181], v[148:149], v[72:79]
	s_mov_b32 s0, s14
	s_mov_b32 s2, s5
	s_delay_alu instid0(VALU_DEP_2)
	v_or3_b32 v86, v86, v84, v87
	v_mov_b32_e32 v84, 0x80
	buffer_store_b32 v86, v92, s[0:3], null offen offset:64
	s_mov_b32 s2, exec_lo
	s_wait_dscnt 0x0
	v_and_b32_e32 v85, 0x7f800000, v80
	s_delay_alu instid0(VALU_DEP_1)
	v_cmpx_ne_u32_e32 0x7f800000, v85
	s_cbranch_execz .LBB3_362
; %bb.355:
	v_mov_b32_e32 v84, 0
	s_mov_b32 s6, exec_lo
	v_cmpx_ne_u32_e32 0, v80
	s_cbranch_execz .LBB3_361
; %bb.356:
	v_bfe_u32 v84, v80, 23, 8
	s_delay_alu instid0(VALU_DEP_1) | instskip(SKIP_2) | instid1(VALU_DEP_2)
	v_sub_nc_u32_e32 v86, 0x78, v84
	v_cmp_gt_u32_e32 vcc_lo, 0x79, v84
	s_wait_alu 0xfffd
	v_dual_cndmask_b32 v86, 0, v86 :: v_dual_and_b32 v85, 0x7fffff, v80
	s_delay_alu instid0(VALU_DEP_1) | instskip(SKIP_2) | instid1(VALU_DEP_2)
	v_or_b32_e32 v87, 0x800000, v85
	v_cmp_eq_u32_e32 vcc_lo, 0, v84
	s_wait_alu 0xfffd
	v_dual_cndmask_b32 v85, v87, v85 :: v_dual_add_nc_u32 v84, 0xffffff89, v84
	v_cndmask_b32_e64 v86, v86, 0x77, vcc_lo
	s_delay_alu instid0(VALU_DEP_2) | instskip(NEXT) | instid1(VALU_DEP_2)
	v_cndmask_b32_e64 v84, v84, 0xffffff8a, vcc_lo
	v_lshrrev_b32_e32 v88, v86, v85
	v_lshl_add_u32 v87, 0x100000, v86, -1
	v_lshlrev_b32_e64 v90, v86, 0x80000
	s_delay_alu instid0(VALU_DEP_4) | instskip(NEXT) | instid1(VALU_DEP_4)
	v_add_nc_u32_e32 v86, v86, v84
	v_bfe_u32 v89, v88, 20, 1
	s_delay_alu instid0(VALU_DEP_4) | instskip(NEXT) | instid1(VALU_DEP_2)
	v_and_b32_e32 v85, v87, v85
	v_add_nc_u32_e32 v87, -1, v89
	s_delay_alu instid0(VALU_DEP_2) | instskip(SKIP_1) | instid1(VALU_DEP_1)
	v_cmp_eq_u32_e64 s0, v85, v90
	s_wait_alu 0xf1ff
	v_cndmask_b32_e64 v85, 0, v87, s0
	v_lshrrev_b32_e32 v87, 23, v88
	s_mov_b32 s0, exec_lo
	s_delay_alu instid0(VALU_DEP_2) | instskip(NEXT) | instid1(VALU_DEP_2)
	v_add_nc_u32_e32 v85, v85, v88
	v_xor_b32_e32 v87, 1, v87
	s_delay_alu instid0(VALU_DEP_2) | instskip(NEXT) | instid1(VALU_DEP_1)
	v_and_b32_e32 v84, 0xfffff, v85
	v_add_nc_u32_e32 v85, v84, v88
                                        ; implicit-def: $vgpr84
	s_delay_alu instid0(VALU_DEP_3)
	v_cmpx_ne_u32_e64 v86, v87
	s_wait_alu 0xfffe
	s_xor_b32 s0, exec_lo, s0
; %bb.357:
	s_delay_alu instid0(VALU_DEP_2) | instskip(SKIP_3) | instid1(VALU_DEP_2)
	v_cmp_lt_u32_e32 vcc_lo, 0xffffff, v85
	v_sub_nc_u32_e32 v84, v86, v87
	s_wait_alu 0xfffd
	v_cndmask_b32_e64 v86, 0, 1, vcc_lo
	v_add_co_ci_u32_e64 v84, null, 0, v84, vcc_lo
	s_delay_alu instid0(VALU_DEP_2)
	v_lshrrev_b32_e32 v85, v86, v85
; %bb.358:
	s_wait_alu 0xfffe
	s_and_not1_saveexec_b32 s0, s0
; %bb.359:
	s_delay_alu instid0(VALU_DEP_1)
	v_bfe_u32 v84, v85, 23, 1
; %bb.360:
	s_wait_alu 0xfffe
	s_or_b32 exec_lo, exec_lo, s0
	v_lshrrev_b32_e32 v85, 20, v85
	s_delay_alu instid0(VALU_DEP_2) | instskip(SKIP_3) | instid1(VALU_DEP_2)
	v_cmp_gt_i32_e32 vcc_lo, 16, v84
	v_min_i32_e32 v86, 15, v84
	v_lshrrev_b32_e32 v80, 24, v80
	s_wait_alu 0xfffd
	v_dual_cndmask_b32 v85, 7, v85 :: v_dual_lshlrev_b32 v86, 3, v86
	s_delay_alu instid0(VALU_DEP_2) | instskip(NEXT) | instid1(VALU_DEP_2)
	v_and_b32_e32 v80, 0x80, v80
	v_or_b32_e32 v84, v84, v85
	s_delay_alu instid0(VALU_DEP_3) | instskip(NEXT) | instid1(VALU_DEP_2)
	v_and_b32_e32 v86, 0xf8, v86
	v_cmp_ne_u32_e32 vcc_lo, 0, v84
	v_and_b32_e32 v87, 7, v85
	s_delay_alu instid0(VALU_DEP_1) | instskip(SKIP_1) | instid1(VALU_DEP_1)
	v_or3_b32 v80, v86, v80, v87
	s_wait_alu 0xfffd
	v_cndmask_b32_e32 v84, 0, v80, vcc_lo
.LBB3_361:
	s_wait_alu 0xfffe
	s_or_b32 exec_lo, exec_lo, s6
.LBB3_362:
	s_delay_alu instid0(SALU_CYCLE_1) | instskip(SKIP_2) | instid1(VALU_DEP_2)
	s_or_b32 exec_lo, exec_lo, s2
	v_and_b32_e32 v80, 0x7f800000, v81
	v_wmma_f32_16x16x16_fp8_fp8 v[72:79], v[182:183], v[150:151], v[72:79]
	v_cmp_ne_u32_e32 vcc_lo, 0x7f800000, v80
	v_mov_b32_e32 v80, 0x8000
	s_and_saveexec_b32 s2, vcc_lo
	s_cbranch_execz .LBB3_370
; %bb.363:
	v_mov_b32_e32 v80, 0
	s_mov_b32 s6, exec_lo
	v_cmpx_ne_u32_e32 0, v81
	s_cbranch_execz .LBB3_369
; %bb.364:
	v_bfe_u32 v80, v81, 23, 8
	s_delay_alu instid0(VALU_DEP_1) | instskip(SKIP_2) | instid1(VALU_DEP_2)
	v_sub_nc_u32_e32 v86, 0x78, v80
	v_cmp_gt_u32_e32 vcc_lo, 0x79, v80
	s_wait_alu 0xfffd
	v_dual_cndmask_b32 v86, 0, v86 :: v_dual_and_b32 v85, 0x7fffff, v81
	s_delay_alu instid0(VALU_DEP_1) | instskip(SKIP_2) | instid1(VALU_DEP_2)
	v_or_b32_e32 v87, 0x800000, v85
	v_cmp_eq_u32_e32 vcc_lo, 0, v80
	s_wait_alu 0xfffd
	v_dual_cndmask_b32 v85, v87, v85 :: v_dual_add_nc_u32 v80, 0xffffff89, v80
	v_cndmask_b32_e64 v86, v86, 0x77, vcc_lo
	s_delay_alu instid0(VALU_DEP_2) | instskip(NEXT) | instid1(VALU_DEP_2)
	v_cndmask_b32_e64 v80, v80, 0xffffff8a, vcc_lo
	v_lshrrev_b32_e32 v88, v86, v85
	v_lshl_add_u32 v87, 0x100000, v86, -1
	v_lshlrev_b32_e64 v90, v86, 0x80000
	s_delay_alu instid0(VALU_DEP_4) | instskip(NEXT) | instid1(VALU_DEP_4)
	v_add_nc_u32_e32 v86, v86, v80
	v_bfe_u32 v89, v88, 20, 1
	s_delay_alu instid0(VALU_DEP_4) | instskip(NEXT) | instid1(VALU_DEP_2)
	v_and_b32_e32 v85, v87, v85
	v_add_nc_u32_e32 v87, -1, v89
	s_delay_alu instid0(VALU_DEP_2) | instskip(SKIP_1) | instid1(VALU_DEP_1)
	v_cmp_eq_u32_e64 s0, v85, v90
	s_wait_alu 0xf1ff
	v_cndmask_b32_e64 v85, 0, v87, s0
	v_lshrrev_b32_e32 v87, 23, v88
	s_mov_b32 s0, exec_lo
	s_delay_alu instid0(VALU_DEP_2) | instskip(NEXT) | instid1(VALU_DEP_2)
	v_add_nc_u32_e32 v85, v85, v88
	v_xor_b32_e32 v87, 1, v87
	s_delay_alu instid0(VALU_DEP_2) | instskip(NEXT) | instid1(VALU_DEP_1)
	v_and_b32_e32 v80, 0xfffff, v85
	v_add_nc_u32_e32 v85, v80, v88
                                        ; implicit-def: $vgpr80
	s_delay_alu instid0(VALU_DEP_3)
	v_cmpx_ne_u32_e64 v86, v87
	s_wait_alu 0xfffe
	s_xor_b32 s0, exec_lo, s0
; %bb.365:
	s_delay_alu instid0(VALU_DEP_2) | instskip(SKIP_3) | instid1(VALU_DEP_2)
	v_cmp_lt_u32_e32 vcc_lo, 0xffffff, v85
	v_sub_nc_u32_e32 v80, v86, v87
	s_wait_alu 0xfffd
	v_cndmask_b32_e64 v86, 0, 1, vcc_lo
	v_add_co_ci_u32_e64 v80, null, 0, v80, vcc_lo
	s_delay_alu instid0(VALU_DEP_2)
	v_lshrrev_b32_e32 v85, v86, v85
; %bb.366:
	s_wait_alu 0xfffe
	s_and_not1_saveexec_b32 s0, s0
; %bb.367:
	s_delay_alu instid0(VALU_DEP_1)
	v_bfe_u32 v80, v85, 23, 1
; %bb.368:
	s_wait_alu 0xfffe
	s_or_b32 exec_lo, exec_lo, s0
	v_lshrrev_b32_e32 v85, 20, v85
	s_delay_alu instid0(VALU_DEP_2) | instskip(SKIP_3) | instid1(VALU_DEP_3)
	v_min_i32_e32 v86, 15, v80
	v_cmp_gt_i32_e32 vcc_lo, 16, v80
	v_lshrrev_b32_e32 v81, 24, v81
	s_wait_alu 0xfffd
	v_dual_cndmask_b32 v85, 7, v85 :: v_dual_lshlrev_b32 v86, 3, v86
	s_delay_alu instid0(VALU_DEP_2) | instskip(NEXT) | instid1(VALU_DEP_2)
	v_and_b32_e32 v81, 0x80, v81
	v_and_b32_e32 v86, 0xf8, v86
	s_delay_alu instid0(VALU_DEP_3) | instskip(SKIP_1) | instid1(VALU_DEP_2)
	v_and_b32_e32 v87, 7, v85
	v_or_b32_e32 v80, v80, v85
	v_or3_b32 v81, v81, v86, v87
	s_delay_alu instid0(VALU_DEP_2) | instskip(NEXT) | instid1(VALU_DEP_2)
	v_cmp_ne_u32_e32 vcc_lo, 0, v80
	v_lshlrev_b32_e32 v81, 8, v81
	s_wait_alu 0xfffd
	s_delay_alu instid0(VALU_DEP_1)
	v_cndmask_b32_e32 v80, 0, v81, vcc_lo
.LBB3_369:
	s_wait_alu 0xfffe
	s_or_b32 exec_lo, exec_lo, s6
.LBB3_370:
	s_delay_alu instid0(SALU_CYCLE_1) | instskip(SKIP_2) | instid1(VALU_DEP_2)
	s_or_b32 exec_lo, exec_lo, s2
	v_and_b32_e32 v81, 0x7f800000, v82
	v_wmma_f32_16x16x16_fp8_fp8 v[72:79], v[176:177], v[144:145], v[72:79]
	v_cmp_ne_u32_e32 vcc_lo, 0x7f800000, v81
	v_mov_b32_e32 v81, 0x800000
	s_and_saveexec_b32 s2, vcc_lo
	s_cbranch_execz .LBB3_378
; %bb.371:
	v_mov_b32_e32 v81, 0
	s_mov_b32 s6, exec_lo
	v_cmpx_ne_u32_e32 0, v82
	s_cbranch_execz .LBB3_377
; %bb.372:
	v_bfe_u32 v81, v82, 23, 8
	v_and_b32_e32 v85, 0x7fffff, v82
	s_delay_alu instid0(VALU_DEP_2) | instskip(SKIP_1) | instid1(VALU_DEP_3)
	v_sub_nc_u32_e32 v86, 0x78, v81
	v_cmp_gt_u32_e32 vcc_lo, 0x79, v81
	v_or_b32_e32 v87, 0x800000, v85
	s_wait_alu 0xfffd
	s_delay_alu instid0(VALU_DEP_3)
	v_cndmask_b32_e32 v86, 0, v86, vcc_lo
	v_cmp_eq_u32_e32 vcc_lo, 0, v81
	v_add_nc_u32_e32 v81, 0xffffff89, v81
	s_wait_alu 0xfffd
	v_cndmask_b32_e32 v85, v87, v85, vcc_lo
	v_cndmask_b32_e64 v86, v86, 0x77, vcc_lo
	s_delay_alu instid0(VALU_DEP_3) | instskip(NEXT) | instid1(VALU_DEP_2)
	v_cndmask_b32_e64 v81, v81, 0xffffff8a, vcc_lo
	v_lshrrev_b32_e32 v88, v86, v85
	v_lshl_add_u32 v87, 0x100000, v86, -1
	v_lshlrev_b32_e64 v90, v86, 0x80000
	s_delay_alu instid0(VALU_DEP_4) | instskip(NEXT) | instid1(VALU_DEP_4)
	v_add_nc_u32_e32 v86, v86, v81
	v_bfe_u32 v89, v88, 20, 1
	s_delay_alu instid0(VALU_DEP_4) | instskip(NEXT) | instid1(VALU_DEP_2)
	v_and_b32_e32 v85, v87, v85
	v_add_nc_u32_e32 v87, -1, v89
	s_delay_alu instid0(VALU_DEP_2) | instskip(SKIP_1) | instid1(VALU_DEP_1)
	v_cmp_eq_u32_e64 s0, v85, v90
	s_wait_alu 0xf1ff
	v_cndmask_b32_e64 v85, 0, v87, s0
	v_lshrrev_b32_e32 v87, 23, v88
	s_mov_b32 s0, exec_lo
	s_delay_alu instid0(VALU_DEP_2) | instskip(NEXT) | instid1(VALU_DEP_2)
	v_add_nc_u32_e32 v85, v85, v88
	v_xor_b32_e32 v87, 1, v87
	s_delay_alu instid0(VALU_DEP_2) | instskip(NEXT) | instid1(VALU_DEP_1)
	v_and_b32_e32 v81, 0xfffff, v85
	v_add_nc_u32_e32 v85, v81, v88
                                        ; implicit-def: $vgpr81
	s_delay_alu instid0(VALU_DEP_3)
	v_cmpx_ne_u32_e64 v86, v87
	s_wait_alu 0xfffe
	s_xor_b32 s0, exec_lo, s0
; %bb.373:
	s_delay_alu instid0(VALU_DEP_2) | instskip(SKIP_3) | instid1(VALU_DEP_2)
	v_cmp_lt_u32_e32 vcc_lo, 0xffffff, v85
	v_sub_nc_u32_e32 v81, v86, v87
	s_wait_alu 0xfffd
	v_cndmask_b32_e64 v86, 0, 1, vcc_lo
	v_add_co_ci_u32_e64 v81, null, 0, v81, vcc_lo
	s_delay_alu instid0(VALU_DEP_2)
	v_lshrrev_b32_e32 v85, v86, v85
; %bb.374:
	s_wait_alu 0xfffe
	s_and_not1_saveexec_b32 s0, s0
; %bb.375:
	s_delay_alu instid0(VALU_DEP_1)
	v_bfe_u32 v81, v85, 23, 1
; %bb.376:
	s_wait_alu 0xfffe
	s_or_b32 exec_lo, exec_lo, s0
	v_lshrrev_b32_e32 v85, 20, v85
	s_delay_alu instid0(VALU_DEP_2) | instskip(SKIP_3) | instid1(VALU_DEP_3)
	v_min_i32_e32 v86, 15, v81
	v_cmp_gt_i32_e32 vcc_lo, 16, v81
	v_lshrrev_b32_e32 v82, 24, v82
	s_wait_alu 0xfffd
	v_dual_cndmask_b32 v85, 7, v85 :: v_dual_lshlrev_b32 v86, 3, v86
	s_delay_alu instid0(VALU_DEP_2) | instskip(NEXT) | instid1(VALU_DEP_2)
	v_and_b32_e32 v82, 0x80, v82
	v_and_b32_e32 v86, 0xf8, v86
	s_delay_alu instid0(VALU_DEP_3) | instskip(SKIP_1) | instid1(VALU_DEP_2)
	v_and_b32_e32 v87, 7, v85
	v_or_b32_e32 v81, v81, v85
	v_or3_b32 v82, v82, v86, v87
	s_delay_alu instid0(VALU_DEP_2) | instskip(NEXT) | instid1(VALU_DEP_2)
	v_cmp_ne_u32_e32 vcc_lo, 0, v81
	v_lshlrev_b32_e32 v82, 16, v82
	s_wait_alu 0xfffd
	s_delay_alu instid0(VALU_DEP_1)
	v_cndmask_b32_e32 v81, 0, v82, vcc_lo
.LBB3_377:
	s_wait_alu 0xfffe
	s_or_b32 exec_lo, exec_lo, s6
.LBB3_378:
	s_delay_alu instid0(SALU_CYCLE_1) | instskip(SKIP_2) | instid1(VALU_DEP_2)
	s_or_b32 exec_lo, exec_lo, s2
	v_and_b32_e32 v82, 0x7f800000, v83
	v_wmma_f32_16x16x16_fp8_fp8 v[72:79], v[178:179], v[146:147], v[72:79]
	v_cmp_ne_u32_e32 vcc_lo, 0x7f800000, v82
	v_bfrev_b32_e32 v82, 1
	s_and_saveexec_b32 s2, vcc_lo
	s_cbranch_execz .LBB3_386
; %bb.379:
	v_mov_b32_e32 v82, 0
	s_mov_b32 s6, exec_lo
	v_cmpx_ne_u32_e32 0, v83
	s_cbranch_execz .LBB3_385
; %bb.380:
	v_bfe_u32 v82, v83, 23, 8
	s_delay_alu instid0(VALU_DEP_1) | instskip(SKIP_2) | instid1(VALU_DEP_2)
	v_sub_nc_u32_e32 v86, 0x78, v82
	v_cmp_gt_u32_e32 vcc_lo, 0x79, v82
	s_wait_alu 0xfffd
	v_dual_cndmask_b32 v86, 0, v86 :: v_dual_and_b32 v85, 0x7fffff, v83
	s_delay_alu instid0(VALU_DEP_1) | instskip(SKIP_2) | instid1(VALU_DEP_2)
	v_or_b32_e32 v87, 0x800000, v85
	v_cmp_eq_u32_e32 vcc_lo, 0, v82
	s_wait_alu 0xfffd
	v_dual_cndmask_b32 v85, v87, v85 :: v_dual_add_nc_u32 v82, 0xffffff89, v82
	v_cndmask_b32_e64 v86, v86, 0x77, vcc_lo
	s_delay_alu instid0(VALU_DEP_2) | instskip(NEXT) | instid1(VALU_DEP_2)
	v_cndmask_b32_e64 v82, v82, 0xffffff8a, vcc_lo
	v_lshrrev_b32_e32 v88, v86, v85
	v_lshl_add_u32 v87, 0x100000, v86, -1
	v_lshlrev_b32_e64 v90, v86, 0x80000
	s_delay_alu instid0(VALU_DEP_4) | instskip(NEXT) | instid1(VALU_DEP_4)
	v_add_nc_u32_e32 v86, v86, v82
	v_bfe_u32 v89, v88, 20, 1
	s_delay_alu instid0(VALU_DEP_4) | instskip(NEXT) | instid1(VALU_DEP_2)
	v_and_b32_e32 v85, v87, v85
	v_add_nc_u32_e32 v87, -1, v89
	s_delay_alu instid0(VALU_DEP_2) | instskip(SKIP_1) | instid1(VALU_DEP_1)
	v_cmp_eq_u32_e64 s0, v85, v90
	s_wait_alu 0xf1ff
	v_cndmask_b32_e64 v85, 0, v87, s0
	v_lshrrev_b32_e32 v87, 23, v88
	s_mov_b32 s0, exec_lo
	s_delay_alu instid0(VALU_DEP_2) | instskip(NEXT) | instid1(VALU_DEP_2)
	v_add_nc_u32_e32 v85, v85, v88
	v_xor_b32_e32 v87, 1, v87
	s_delay_alu instid0(VALU_DEP_2) | instskip(NEXT) | instid1(VALU_DEP_1)
	v_and_b32_e32 v82, 0xfffff, v85
	v_add_nc_u32_e32 v85, v82, v88
                                        ; implicit-def: $vgpr82
	s_delay_alu instid0(VALU_DEP_3)
	v_cmpx_ne_u32_e64 v86, v87
	s_wait_alu 0xfffe
	s_xor_b32 s0, exec_lo, s0
; %bb.381:
	s_delay_alu instid0(VALU_DEP_2) | instskip(SKIP_3) | instid1(VALU_DEP_2)
	v_cmp_lt_u32_e32 vcc_lo, 0xffffff, v85
	v_sub_nc_u32_e32 v82, v86, v87
	s_wait_alu 0xfffd
	v_cndmask_b32_e64 v86, 0, 1, vcc_lo
	v_add_co_ci_u32_e64 v82, null, 0, v82, vcc_lo
	s_delay_alu instid0(VALU_DEP_2)
	v_lshrrev_b32_e32 v85, v86, v85
; %bb.382:
	s_wait_alu 0xfffe
	s_and_not1_saveexec_b32 s0, s0
; %bb.383:
	s_delay_alu instid0(VALU_DEP_1)
	v_bfe_u32 v82, v85, 23, 1
; %bb.384:
	s_wait_alu 0xfffe
	s_or_b32 exec_lo, exec_lo, s0
	v_lshrrev_b32_e32 v85, 20, v85
	s_delay_alu instid0(VALU_DEP_2) | instskip(SKIP_3) | instid1(VALU_DEP_2)
	v_cmp_gt_i32_e32 vcc_lo, 16, v82
	v_min_i32_e32 v86, 15, v82
	v_lshrrev_b32_e32 v83, 24, v83
	s_wait_alu 0xfffd
	v_dual_cndmask_b32 v85, 7, v85 :: v_dual_lshlrev_b32 v86, 3, v86
	s_delay_alu instid0(VALU_DEP_2) | instskip(NEXT) | instid1(VALU_DEP_2)
	v_and_b32_e32 v83, 0x80, v83
	v_or_b32_e32 v82, v82, v85
	s_delay_alu instid0(VALU_DEP_1) | instskip(SKIP_1) | instid1(VALU_DEP_1)
	v_cmp_ne_u32_e32 vcc_lo, 0, v82
	v_and_b32_e32 v87, 7, v85
	v_or3_b32 v83, v83, v86, v87
	s_delay_alu instid0(VALU_DEP_1) | instskip(SKIP_1) | instid1(VALU_DEP_1)
	v_lshlrev_b32_e32 v83, 24, v83
	s_wait_alu 0xfffd
	v_cndmask_b32_e32 v82, 0, v83, vcc_lo
.LBB3_385:
	s_wait_alu 0xfffe
	s_or_b32 exec_lo, exec_lo, s6
.LBB3_386:
	s_delay_alu instid0(SALU_CYCLE_1) | instskip(SKIP_3) | instid1(VALU_DEP_1)
	s_or_b32 exec_lo, exec_lo, s2
	v_or_b32_e32 v80, v80, v84
	s_mov_b32 s0, s14
	s_mov_b32 s2, s5
	v_or3_b32 v80, v81, v80, v82
	buffer_store_b32 v80, v92, s[0:3], null offen offset:68
	s_wait_dscnt 0x0
	s_barrier_signal -1
	s_barrier_wait -1
	ds_store_2addr_stride64_b32 v209, v72, v73 offset1:1
	ds_store_2addr_stride64_b32 v209, v74, v75 offset0:2 offset1:3
	ds_store_2addr_stride64_b32 v209, v76, v77 offset0:4 offset1:5
	;; [unrolled: 1-line block ×3, first 2 shown]
	s_wait_dscnt 0x0
	s_barrier_signal -1
	s_barrier_wait -1
	ds_load_b128 v[72:75], v208
	s_wait_dscnt 0x0
	v_and_b32_e32 v76, 0x7f800000, v72
	s_delay_alu instid0(VALU_DEP_1)
	v_cmp_ne_u32_e32 vcc_lo, 0x7f800000, v76
	v_mov_b32_e32 v76, 0x80
	s_and_saveexec_b32 s2, vcc_lo
	s_cbranch_execz .LBB3_394
; %bb.387:
	v_mov_b32_e32 v76, 0
	s_mov_b32 s6, exec_lo
	v_cmpx_ne_u32_e32 0, v72
	s_cbranch_execz .LBB3_393
; %bb.388:
	v_bfe_u32 v76, v72, 23, 8
	s_delay_alu instid0(VALU_DEP_1) | instskip(SKIP_2) | instid1(VALU_DEP_2)
	v_sub_nc_u32_e32 v78, 0x78, v76
	v_cmp_gt_u32_e32 vcc_lo, 0x79, v76
	s_wait_alu 0xfffd
	v_dual_cndmask_b32 v78, 0, v78 :: v_dual_and_b32 v77, 0x7fffff, v72
	s_delay_alu instid0(VALU_DEP_1) | instskip(SKIP_2) | instid1(VALU_DEP_2)
	v_or_b32_e32 v79, 0x800000, v77
	v_cmp_eq_u32_e32 vcc_lo, 0, v76
	s_wait_alu 0xfffd
	v_dual_cndmask_b32 v77, v79, v77 :: v_dual_add_nc_u32 v76, 0xffffff89, v76
	v_cndmask_b32_e64 v78, v78, 0x77, vcc_lo
	s_delay_alu instid0(VALU_DEP_2) | instskip(NEXT) | instid1(VALU_DEP_2)
	v_cndmask_b32_e64 v76, v76, 0xffffff8a, vcc_lo
	v_lshrrev_b32_e32 v80, v78, v77
	v_lshl_add_u32 v79, 0x100000, v78, -1
	v_lshlrev_b32_e64 v82, v78, 0x80000
	s_delay_alu instid0(VALU_DEP_4) | instskip(NEXT) | instid1(VALU_DEP_4)
	v_add_nc_u32_e32 v78, v78, v76
	v_bfe_u32 v81, v80, 20, 1
	s_delay_alu instid0(VALU_DEP_4) | instskip(NEXT) | instid1(VALU_DEP_2)
	v_and_b32_e32 v77, v79, v77
	v_add_nc_u32_e32 v79, -1, v81
	s_delay_alu instid0(VALU_DEP_2) | instskip(SKIP_1) | instid1(VALU_DEP_1)
	v_cmp_eq_u32_e64 s0, v77, v82
	s_wait_alu 0xf1ff
	v_cndmask_b32_e64 v77, 0, v79, s0
	v_lshrrev_b32_e32 v79, 23, v80
	s_mov_b32 s0, exec_lo
	s_delay_alu instid0(VALU_DEP_2) | instskip(NEXT) | instid1(VALU_DEP_2)
	v_add_nc_u32_e32 v77, v77, v80
	v_xor_b32_e32 v79, 1, v79
	s_delay_alu instid0(VALU_DEP_2) | instskip(NEXT) | instid1(VALU_DEP_1)
	v_and_b32_e32 v76, 0xfffff, v77
	v_add_nc_u32_e32 v77, v76, v80
                                        ; implicit-def: $vgpr76
	s_delay_alu instid0(VALU_DEP_3)
	v_cmpx_ne_u32_e64 v78, v79
	s_wait_alu 0xfffe
	s_xor_b32 s0, exec_lo, s0
; %bb.389:
	s_delay_alu instid0(VALU_DEP_2) | instskip(SKIP_3) | instid1(VALU_DEP_2)
	v_cmp_lt_u32_e32 vcc_lo, 0xffffff, v77
	v_sub_nc_u32_e32 v76, v78, v79
	s_wait_alu 0xfffd
	v_cndmask_b32_e64 v78, 0, 1, vcc_lo
	v_add_co_ci_u32_e64 v76, null, 0, v76, vcc_lo
	s_delay_alu instid0(VALU_DEP_2)
	v_lshrrev_b32_e32 v77, v78, v77
; %bb.390:
	s_wait_alu 0xfffe
	s_and_not1_saveexec_b32 s0, s0
; %bb.391:
	s_delay_alu instid0(VALU_DEP_1)
	v_bfe_u32 v76, v77, 23, 1
; %bb.392:
	s_wait_alu 0xfffe
	s_or_b32 exec_lo, exec_lo, s0
	v_lshrrev_b32_e32 v77, 20, v77
	s_delay_alu instid0(VALU_DEP_2) | instskip(SKIP_3) | instid1(VALU_DEP_2)
	v_cmp_gt_i32_e32 vcc_lo, 16, v76
	v_min_i32_e32 v78, 15, v76
	v_lshrrev_b32_e32 v72, 24, v72
	s_wait_alu 0xfffd
	v_dual_cndmask_b32 v77, 7, v77 :: v_dual_lshlrev_b32 v78, 3, v78
	s_delay_alu instid0(VALU_DEP_2) | instskip(NEXT) | instid1(VALU_DEP_2)
	v_and_b32_e32 v72, 0x80, v72
	v_or_b32_e32 v76, v76, v77
	s_delay_alu instid0(VALU_DEP_3) | instskip(NEXT) | instid1(VALU_DEP_2)
	v_and_b32_e32 v78, 0xf8, v78
	v_cmp_ne_u32_e32 vcc_lo, 0, v76
	v_and_b32_e32 v79, 7, v77
	s_delay_alu instid0(VALU_DEP_1) | instskip(SKIP_1) | instid1(VALU_DEP_1)
	v_or3_b32 v72, v78, v72, v79
	s_wait_alu 0xfffd
	v_cndmask_b32_e32 v76, 0, v72, vcc_lo
.LBB3_393:
	s_wait_alu 0xfffe
	s_or_b32 exec_lo, exec_lo, s6
.LBB3_394:
	s_delay_alu instid0(SALU_CYCLE_1) | instskip(SKIP_3) | instid1(VALU_DEP_2)
	s_or_b32 exec_lo, exec_lo, s2
	v_and_b32_e32 v72, 0x7f800000, v73
	v_mov_b32_e32 v77, 0x8000
	s_mov_b32 s2, exec_lo
	v_cmpx_ne_u32_e32 0x7f800000, v72
	s_cbranch_execz .LBB3_402
; %bb.395:
	v_mov_b32_e32 v77, 0
	s_mov_b32 s6, exec_lo
	v_cmpx_ne_u32_e32 0, v73
	s_cbranch_execz .LBB3_401
; %bb.396:
	v_bfe_u32 v72, v73, 23, 8
	s_delay_alu instid0(VALU_DEP_1) | instskip(SKIP_2) | instid1(VALU_DEP_2)
	v_sub_nc_u32_e32 v78, 0x78, v72
	v_cmp_gt_u32_e32 vcc_lo, 0x79, v72
	s_wait_alu 0xfffd
	v_dual_cndmask_b32 v78, 0, v78 :: v_dual_and_b32 v77, 0x7fffff, v73
	s_delay_alu instid0(VALU_DEP_1) | instskip(SKIP_2) | instid1(VALU_DEP_2)
	v_or_b32_e32 v79, 0x800000, v77
	v_cmp_eq_u32_e32 vcc_lo, 0, v72
	s_wait_alu 0xfffd
	v_dual_cndmask_b32 v77, v79, v77 :: v_dual_add_nc_u32 v72, 0xffffff89, v72
	v_cndmask_b32_e64 v78, v78, 0x77, vcc_lo
	s_delay_alu instid0(VALU_DEP_2) | instskip(NEXT) | instid1(VALU_DEP_2)
	v_cndmask_b32_e64 v72, v72, 0xffffff8a, vcc_lo
	v_lshrrev_b32_e32 v80, v78, v77
	v_lshl_add_u32 v79, 0x100000, v78, -1
	v_lshlrev_b32_e64 v82, v78, 0x80000
	s_delay_alu instid0(VALU_DEP_4) | instskip(NEXT) | instid1(VALU_DEP_4)
	v_add_nc_u32_e32 v78, v78, v72
	v_bfe_u32 v81, v80, 20, 1
	s_delay_alu instid0(VALU_DEP_4) | instskip(NEXT) | instid1(VALU_DEP_2)
	v_and_b32_e32 v77, v79, v77
	v_add_nc_u32_e32 v79, -1, v81
	s_delay_alu instid0(VALU_DEP_2) | instskip(SKIP_1) | instid1(VALU_DEP_1)
	v_cmp_eq_u32_e64 s0, v77, v82
	s_wait_alu 0xf1ff
	v_cndmask_b32_e64 v77, 0, v79, s0
	v_lshrrev_b32_e32 v79, 23, v80
	s_mov_b32 s0, exec_lo
	s_delay_alu instid0(VALU_DEP_2) | instskip(NEXT) | instid1(VALU_DEP_2)
	v_add_nc_u32_e32 v77, v77, v80
	v_xor_b32_e32 v79, 1, v79
	s_delay_alu instid0(VALU_DEP_2) | instskip(NEXT) | instid1(VALU_DEP_1)
	v_and_b32_e32 v72, 0xfffff, v77
	v_add_nc_u32_e32 v77, v72, v80
                                        ; implicit-def: $vgpr72
	s_delay_alu instid0(VALU_DEP_3)
	v_cmpx_ne_u32_e64 v78, v79
	s_wait_alu 0xfffe
	s_xor_b32 s0, exec_lo, s0
; %bb.397:
	s_delay_alu instid0(VALU_DEP_2) | instskip(SKIP_3) | instid1(VALU_DEP_2)
	v_cmp_lt_u32_e32 vcc_lo, 0xffffff, v77
	v_sub_nc_u32_e32 v72, v78, v79
	s_wait_alu 0xfffd
	v_cndmask_b32_e64 v78, 0, 1, vcc_lo
	v_add_co_ci_u32_e64 v72, null, 0, v72, vcc_lo
	s_delay_alu instid0(VALU_DEP_2)
	v_lshrrev_b32_e32 v77, v78, v77
; %bb.398:
	s_wait_alu 0xfffe
	s_and_not1_saveexec_b32 s0, s0
; %bb.399:
	s_delay_alu instid0(VALU_DEP_1)
	v_bfe_u32 v72, v77, 23, 1
; %bb.400:
	s_wait_alu 0xfffe
	s_or_b32 exec_lo, exec_lo, s0
	v_lshrrev_b32_e32 v77, 20, v77
	s_delay_alu instid0(VALU_DEP_2) | instskip(SKIP_3) | instid1(VALU_DEP_2)
	v_cmp_gt_i32_e32 vcc_lo, 16, v72
	v_min_i32_e32 v78, 15, v72
	v_lshrrev_b32_e32 v73, 24, v73
	s_wait_alu 0xfffd
	v_dual_cndmask_b32 v77, 7, v77 :: v_dual_lshlrev_b32 v78, 3, v78
	s_delay_alu instid0(VALU_DEP_2) | instskip(NEXT) | instid1(VALU_DEP_2)
	v_and_b32_e32 v73, 0x80, v73
	v_or_b32_e32 v72, v72, v77
	v_and_b32_e32 v79, 7, v77
	s_delay_alu instid0(VALU_DEP_2) | instskip(SKIP_1) | instid1(VALU_DEP_1)
	v_cmp_ne_u32_e32 vcc_lo, 0, v72
	v_and_b32_e32 v78, 0xf8, v78
	v_or3_b32 v73, v73, v78, v79
	s_delay_alu instid0(VALU_DEP_1) | instskip(SKIP_1) | instid1(VALU_DEP_1)
	v_lshlrev_b32_e32 v73, 8, v73
	s_wait_alu 0xfffd
	v_cndmask_b32_e32 v77, 0, v73, vcc_lo
.LBB3_401:
	s_wait_alu 0xfffe
	s_or_b32 exec_lo, exec_lo, s6
.LBB3_402:
	s_delay_alu instid0(SALU_CYCLE_1) | instskip(SKIP_3) | instid1(VALU_DEP_2)
	s_or_b32 exec_lo, exec_lo, s2
	v_and_b32_e32 v72, 0x7f800000, v74
	v_mov_b32_e32 v78, 0x800000
	s_mov_b32 s2, exec_lo
	v_cmpx_ne_u32_e32 0x7f800000, v72
	s_cbranch_execz .LBB3_410
; %bb.403:
	v_mov_b32_e32 v78, 0
	s_mov_b32 s6, exec_lo
	v_cmpx_ne_u32_e32 0, v74
	s_cbranch_execz .LBB3_409
; %bb.404:
	v_bfe_u32 v72, v74, 23, 8
	v_and_b32_e32 v73, 0x7fffff, v74
	s_delay_alu instid0(VALU_DEP_2) | instskip(SKIP_1) | instid1(VALU_DEP_3)
	v_sub_nc_u32_e32 v78, 0x78, v72
	v_cmp_gt_u32_e32 vcc_lo, 0x79, v72
	v_or_b32_e32 v79, 0x800000, v73
	s_wait_alu 0xfffd
	s_delay_alu instid0(VALU_DEP_3) | instskip(SKIP_3) | instid1(VALU_DEP_3)
	v_cndmask_b32_e32 v78, 0, v78, vcc_lo
	v_cmp_eq_u32_e32 vcc_lo, 0, v72
	s_wait_alu 0xfffd
	v_dual_cndmask_b32 v73, v79, v73 :: v_dual_add_nc_u32 v72, 0xffffff89, v72
	v_cndmask_b32_e64 v78, v78, 0x77, vcc_lo
	s_delay_alu instid0(VALU_DEP_2) | instskip(NEXT) | instid1(VALU_DEP_2)
	v_cndmask_b32_e64 v72, v72, 0xffffff8a, vcc_lo
	v_lshrrev_b32_e32 v80, v78, v73
	v_lshl_add_u32 v79, 0x100000, v78, -1
	v_lshlrev_b32_e64 v82, v78, 0x80000
	s_delay_alu instid0(VALU_DEP_4) | instskip(NEXT) | instid1(VALU_DEP_4)
	v_add_nc_u32_e32 v78, v78, v72
	v_bfe_u32 v81, v80, 20, 1
	s_delay_alu instid0(VALU_DEP_4) | instskip(NEXT) | instid1(VALU_DEP_2)
	v_and_b32_e32 v73, v79, v73
	v_add_nc_u32_e32 v79, -1, v81
	s_delay_alu instid0(VALU_DEP_2) | instskip(SKIP_1) | instid1(VALU_DEP_1)
	v_cmp_eq_u32_e64 s0, v73, v82
	s_wait_alu 0xf1ff
	v_cndmask_b32_e64 v73, 0, v79, s0
	v_lshrrev_b32_e32 v79, 23, v80
	s_mov_b32 s0, exec_lo
	s_delay_alu instid0(VALU_DEP_2) | instskip(NEXT) | instid1(VALU_DEP_2)
	v_add_nc_u32_e32 v73, v73, v80
	v_xor_b32_e32 v79, 1, v79
	s_delay_alu instid0(VALU_DEP_2) | instskip(NEXT) | instid1(VALU_DEP_1)
	v_and_b32_e32 v72, 0xfffff, v73
	v_add_nc_u32_e32 v73, v72, v80
                                        ; implicit-def: $vgpr72
	s_delay_alu instid0(VALU_DEP_3)
	v_cmpx_ne_u32_e64 v78, v79
	s_wait_alu 0xfffe
	s_xor_b32 s0, exec_lo, s0
; %bb.405:
	s_delay_alu instid0(VALU_DEP_2) | instskip(SKIP_3) | instid1(VALU_DEP_2)
	v_cmp_lt_u32_e32 vcc_lo, 0xffffff, v73
	v_sub_nc_u32_e32 v72, v78, v79
	s_wait_alu 0xfffd
	v_cndmask_b32_e64 v78, 0, 1, vcc_lo
	v_add_co_ci_u32_e64 v72, null, 0, v72, vcc_lo
	s_delay_alu instid0(VALU_DEP_2)
	v_lshrrev_b32_e32 v73, v78, v73
; %bb.406:
	s_wait_alu 0xfffe
	s_and_not1_saveexec_b32 s0, s0
; %bb.407:
	s_delay_alu instid0(VALU_DEP_1)
	v_bfe_u32 v72, v73, 23, 1
; %bb.408:
	s_wait_alu 0xfffe
	s_or_b32 exec_lo, exec_lo, s0
	v_lshrrev_b32_e32 v73, 20, v73
	s_delay_alu instid0(VALU_DEP_2) | instskip(SKIP_3) | instid1(VALU_DEP_3)
	v_min_i32_e32 v78, 15, v72
	v_cmp_gt_i32_e32 vcc_lo, 16, v72
	v_lshrrev_b32_e32 v74, 24, v74
	s_wait_alu 0xfffd
	v_dual_cndmask_b32 v73, 7, v73 :: v_dual_lshlrev_b32 v78, 3, v78
	s_delay_alu instid0(VALU_DEP_2) | instskip(NEXT) | instid1(VALU_DEP_2)
	v_and_b32_e32 v74, 0x80, v74
	v_and_b32_e32 v78, 0xf8, v78
	s_delay_alu instid0(VALU_DEP_3) | instskip(SKIP_1) | instid1(VALU_DEP_2)
	v_and_b32_e32 v79, 7, v73
	v_or_b32_e32 v72, v72, v73
	v_or3_b32 v74, v74, v78, v79
	s_delay_alu instid0(VALU_DEP_2) | instskip(NEXT) | instid1(VALU_DEP_2)
	v_cmp_ne_u32_e32 vcc_lo, 0, v72
	v_lshlrev_b32_e32 v73, 16, v74
	s_wait_alu 0xfffd
	s_delay_alu instid0(VALU_DEP_1)
	v_cndmask_b32_e32 v78, 0, v73, vcc_lo
.LBB3_409:
	s_wait_alu 0xfffe
	s_or_b32 exec_lo, exec_lo, s6
.LBB3_410:
	s_delay_alu instid0(SALU_CYCLE_1) | instskip(SKIP_4) | instid1(VALU_DEP_3)
	s_or_b32 exec_lo, exec_lo, s2
	v_and_b32_e32 v72, 0x7f800000, v75
	v_add_nc_u32_e32 v79, 64, v92
	v_bfrev_b32_e32 v80, 1
	s_mov_b32 s2, exec_lo
	v_cmpx_ne_u32_e32 0x7f800000, v72
	s_cbranch_execz .LBB3_418
; %bb.411:
	v_mov_b32_e32 v80, 0
	s_mov_b32 s6, exec_lo
	v_cmpx_ne_u32_e32 0, v75
	s_cbranch_execz .LBB3_417
; %bb.412:
	v_bfe_u32 v72, v75, 23, 8
	s_delay_alu instid0(VALU_DEP_1) | instskip(SKIP_2) | instid1(VALU_DEP_2)
	v_sub_nc_u32_e32 v74, 0x78, v72
	v_cmp_gt_u32_e32 vcc_lo, 0x79, v72
	s_wait_alu 0xfffd
	v_dual_cndmask_b32 v74, 0, v74 :: v_dual_and_b32 v73, 0x7fffff, v75
	s_delay_alu instid0(VALU_DEP_1)
	v_or_b32_e32 v80, 0x800000, v73
	v_cmp_eq_u32_e32 vcc_lo, 0, v72
	v_add_nc_u32_e32 v72, 0xffffff89, v72
	s_wait_alu 0xfffd
	v_cndmask_b32_e64 v74, v74, 0x77, vcc_lo
	v_cndmask_b32_e32 v73, v80, v73, vcc_lo
	s_delay_alu instid0(VALU_DEP_3) | instskip(NEXT) | instid1(VALU_DEP_3)
	v_cndmask_b32_e64 v72, v72, 0xffffff8a, vcc_lo
	v_lshl_add_u32 v80, 0x100000, v74, -1
	s_delay_alu instid0(VALU_DEP_3) | instskip(SKIP_1) | instid1(VALU_DEP_4)
	v_lshrrev_b32_e32 v81, v74, v73
	v_lshlrev_b32_e64 v83, v74, 0x80000
	v_add_nc_u32_e32 v74, v74, v72
	s_delay_alu instid0(VALU_DEP_4) | instskip(NEXT) | instid1(VALU_DEP_4)
	v_and_b32_e32 v73, v80, v73
	v_bfe_u32 v82, v81, 20, 1
	s_delay_alu instid0(VALU_DEP_2) | instskip(NEXT) | instid1(VALU_DEP_2)
	v_cmp_eq_u32_e64 s0, v73, v83
	v_add_nc_u32_e32 v80, -1, v82
	s_wait_alu 0xf1ff
	s_delay_alu instid0(VALU_DEP_1) | instskip(SKIP_2) | instid1(VALU_DEP_2)
	v_cndmask_b32_e64 v73, 0, v80, s0
	v_lshrrev_b32_e32 v80, 23, v81
	s_mov_b32 s0, exec_lo
	v_add_nc_u32_e32 v73, v73, v81
	s_delay_alu instid0(VALU_DEP_2) | instskip(NEXT) | instid1(VALU_DEP_2)
	v_xor_b32_e32 v80, 1, v80
	v_and_b32_e32 v72, 0xfffff, v73
	s_delay_alu instid0(VALU_DEP_1) | instskip(NEXT) | instid1(VALU_DEP_3)
	v_add_nc_u32_e32 v73, v72, v81
                                        ; implicit-def: $vgpr72
	v_cmpx_ne_u32_e64 v74, v80
	s_wait_alu 0xfffe
	s_xor_b32 s0, exec_lo, s0
; %bb.413:
	s_delay_alu instid0(VALU_DEP_2) | instskip(SKIP_3) | instid1(VALU_DEP_2)
	v_cmp_lt_u32_e32 vcc_lo, 0xffffff, v73
	v_sub_nc_u32_e32 v72, v74, v80
	s_wait_alu 0xfffd
	v_cndmask_b32_e64 v74, 0, 1, vcc_lo
	v_add_co_ci_u32_e64 v72, null, 0, v72, vcc_lo
	s_delay_alu instid0(VALU_DEP_2)
	v_lshrrev_b32_e32 v73, v74, v73
; %bb.414:
	s_wait_alu 0xfffe
	s_and_not1_saveexec_b32 s0, s0
; %bb.415:
	s_delay_alu instid0(VALU_DEP_1)
	v_bfe_u32 v72, v73, 23, 1
; %bb.416:
	s_wait_alu 0xfffe
	s_or_b32 exec_lo, exec_lo, s0
	v_lshrrev_b32_e32 v73, 20, v73
	s_delay_alu instid0(VALU_DEP_2) | instskip(SKIP_3) | instid1(VALU_DEP_2)
	v_cmp_gt_i32_e32 vcc_lo, 16, v72
	v_lshrrev_b32_e32 v74, 24, v75
	v_min_i32_e32 v75, 15, v72
	s_wait_alu 0xfffd
	v_dual_cndmask_b32 v73, 7, v73 :: v_dual_and_b32 v74, 0x80, v74
	s_delay_alu instid0(VALU_DEP_1) | instskip(SKIP_1) | instid1(VALU_DEP_2)
	v_or_b32_e32 v72, v72, v73
	v_and_b32_e32 v80, 7, v73
	v_cmp_ne_u32_e32 vcc_lo, 0, v72
	v_lshlrev_b32_e32 v75, 3, v75
	s_delay_alu instid0(VALU_DEP_1) | instskip(NEXT) | instid1(VALU_DEP_1)
	v_or3_b32 v74, v74, v75, v80
	v_lshlrev_b32_e32 v73, 24, v74
	s_wait_alu 0xfffd
	s_delay_alu instid0(VALU_DEP_1)
	v_cndmask_b32_e32 v80, 0, v73, vcc_lo
.LBB3_417:
	s_wait_alu 0xfffe
	s_or_b32 exec_lo, exec_lo, s6
.LBB3_418:
	s_delay_alu instid0(SALU_CYCLE_1)
	s_or_b32 exec_lo, exec_lo, s2
	ds_load_b128 v[72:75], v208 offset:16
	v_or_b32_e32 v77, v77, v76
	v_add_nc_u32_e32 v76, s4, v79
	v_wmma_f32_16x16x16_fp8_fp8 v[64:71], v[180:181], v[136:137], v[64:71]
	s_mov_b32 s0, s14
	s_mov_b32 s2, s5
	v_or3_b32 v78, v78, v77, v80
	v_mov_b32_e32 v77, 0x80
	buffer_store_b32 v78, v76, s[0:3], null offen
	s_mov_b32 s2, exec_lo
	s_wait_dscnt 0x0
	v_and_b32_e32 v81, 0x7f800000, v72
	s_delay_alu instid0(VALU_DEP_1)
	v_cmpx_ne_u32_e32 0x7f800000, v81
	s_cbranch_execz .LBB3_426
; %bb.419:
	v_mov_b32_e32 v77, 0
	s_mov_b32 s6, exec_lo
	v_cmpx_ne_u32_e32 0, v72
	s_cbranch_execz .LBB3_425
; %bb.420:
	v_bfe_u32 v77, v72, 23, 8
	s_delay_alu instid0(VALU_DEP_1) | instskip(SKIP_2) | instid1(VALU_DEP_2)
	v_sub_nc_u32_e32 v79, 0x78, v77
	v_cmp_gt_u32_e32 vcc_lo, 0x79, v77
	s_wait_alu 0xfffd
	v_dual_cndmask_b32 v79, 0, v79 :: v_dual_and_b32 v78, 0x7fffff, v72
	s_delay_alu instid0(VALU_DEP_1) | instskip(SKIP_2) | instid1(VALU_DEP_2)
	v_or_b32_e32 v80, 0x800000, v78
	v_cmp_eq_u32_e32 vcc_lo, 0, v77
	s_wait_alu 0xfffd
	v_dual_cndmask_b32 v78, v80, v78 :: v_dual_add_nc_u32 v77, 0xffffff89, v77
	v_cndmask_b32_e64 v79, v79, 0x77, vcc_lo
	s_delay_alu instid0(VALU_DEP_2) | instskip(NEXT) | instid1(VALU_DEP_2)
	v_cndmask_b32_e64 v77, v77, 0xffffff8a, vcc_lo
	v_lshrrev_b32_e32 v81, v79, v78
	v_lshl_add_u32 v80, 0x100000, v79, -1
	v_lshlrev_b32_e64 v83, v79, 0x80000
	s_delay_alu instid0(VALU_DEP_4) | instskip(NEXT) | instid1(VALU_DEP_4)
	v_add_nc_u32_e32 v79, v79, v77
	v_bfe_u32 v82, v81, 20, 1
	s_delay_alu instid0(VALU_DEP_4) | instskip(NEXT) | instid1(VALU_DEP_2)
	v_and_b32_e32 v78, v80, v78
	v_add_nc_u32_e32 v80, -1, v82
	s_delay_alu instid0(VALU_DEP_2) | instskip(SKIP_1) | instid1(VALU_DEP_1)
	v_cmp_eq_u32_e64 s0, v78, v83
	s_wait_alu 0xf1ff
	v_cndmask_b32_e64 v78, 0, v80, s0
	v_lshrrev_b32_e32 v80, 23, v81
	s_mov_b32 s0, exec_lo
	s_delay_alu instid0(VALU_DEP_2) | instskip(NEXT) | instid1(VALU_DEP_2)
	v_add_nc_u32_e32 v78, v78, v81
	v_xor_b32_e32 v80, 1, v80
	s_delay_alu instid0(VALU_DEP_2) | instskip(NEXT) | instid1(VALU_DEP_1)
	v_and_b32_e32 v77, 0xfffff, v78
	v_add_nc_u32_e32 v78, v77, v81
                                        ; implicit-def: $vgpr77
	s_delay_alu instid0(VALU_DEP_3)
	v_cmpx_ne_u32_e64 v79, v80
	s_wait_alu 0xfffe
	s_xor_b32 s0, exec_lo, s0
; %bb.421:
	s_delay_alu instid0(VALU_DEP_2) | instskip(SKIP_3) | instid1(VALU_DEP_2)
	v_cmp_lt_u32_e32 vcc_lo, 0xffffff, v78
	v_sub_nc_u32_e32 v77, v79, v80
	s_wait_alu 0xfffd
	v_cndmask_b32_e64 v79, 0, 1, vcc_lo
	v_add_co_ci_u32_e64 v77, null, 0, v77, vcc_lo
	s_delay_alu instid0(VALU_DEP_2)
	v_lshrrev_b32_e32 v78, v79, v78
; %bb.422:
	s_wait_alu 0xfffe
	s_and_not1_saveexec_b32 s0, s0
; %bb.423:
	s_delay_alu instid0(VALU_DEP_1)
	v_bfe_u32 v77, v78, 23, 1
; %bb.424:
	s_wait_alu 0xfffe
	s_or_b32 exec_lo, exec_lo, s0
	v_lshrrev_b32_e32 v78, 20, v78
	s_delay_alu instid0(VALU_DEP_2) | instskip(SKIP_3) | instid1(VALU_DEP_2)
	v_cmp_gt_i32_e32 vcc_lo, 16, v77
	v_min_i32_e32 v79, 15, v77
	v_lshrrev_b32_e32 v72, 24, v72
	s_wait_alu 0xfffd
	v_dual_cndmask_b32 v78, 7, v78 :: v_dual_lshlrev_b32 v79, 3, v79
	s_delay_alu instid0(VALU_DEP_2) | instskip(NEXT) | instid1(VALU_DEP_2)
	v_and_b32_e32 v72, 0x80, v72
	v_or_b32_e32 v77, v77, v78
	s_delay_alu instid0(VALU_DEP_3) | instskip(NEXT) | instid1(VALU_DEP_2)
	v_and_b32_e32 v79, 0xf8, v79
	v_cmp_ne_u32_e32 vcc_lo, 0, v77
	v_and_b32_e32 v80, 7, v78
	s_delay_alu instid0(VALU_DEP_1) | instskip(SKIP_1) | instid1(VALU_DEP_1)
	v_or3_b32 v72, v79, v72, v80
	s_wait_alu 0xfffd
	v_cndmask_b32_e32 v77, 0, v72, vcc_lo
.LBB3_425:
	s_wait_alu 0xfffe
	s_or_b32 exec_lo, exec_lo, s6
.LBB3_426:
	s_delay_alu instid0(SALU_CYCLE_1) | instskip(SKIP_2) | instid1(VALU_DEP_2)
	s_or_b32 exec_lo, exec_lo, s2
	v_and_b32_e32 v72, 0x7f800000, v73
	v_wmma_f32_16x16x16_fp8_fp8 v[64:71], v[182:183], v[138:139], v[64:71]
	v_cmp_ne_u32_e32 vcc_lo, 0x7f800000, v72
	v_mov_b32_e32 v72, 0x8000
	s_and_saveexec_b32 s2, vcc_lo
	s_cbranch_execz .LBB3_434
; %bb.427:
	v_mov_b32_e32 v72, 0
	s_mov_b32 s6, exec_lo
	v_cmpx_ne_u32_e32 0, v73
	s_cbranch_execz .LBB3_433
; %bb.428:
	v_bfe_u32 v72, v73, 23, 8
	s_delay_alu instid0(VALU_DEP_1) | instskip(SKIP_2) | instid1(VALU_DEP_2)
	v_sub_nc_u32_e32 v79, 0x78, v72
	v_cmp_gt_u32_e32 vcc_lo, 0x79, v72
	s_wait_alu 0xfffd
	v_dual_cndmask_b32 v79, 0, v79 :: v_dual_and_b32 v78, 0x7fffff, v73
	s_delay_alu instid0(VALU_DEP_1) | instskip(SKIP_4) | instid1(VALU_DEP_2)
	v_or_b32_e32 v80, 0x800000, v78
	v_cmp_eq_u32_e32 vcc_lo, 0, v72
	v_add_nc_u32_e32 v72, 0xffffff89, v72
	s_wait_alu 0xfffd
	v_cndmask_b32_e64 v79, v79, 0x77, vcc_lo
	v_cndmask_b32_e64 v72, v72, 0xffffff8a, vcc_lo
	v_cndmask_b32_e32 v78, v80, v78, vcc_lo
	s_delay_alu instid0(VALU_DEP_3) | instskip(SKIP_1) | instid1(VALU_DEP_3)
	v_lshl_add_u32 v80, 0x100000, v79, -1
	v_lshlrev_b32_e64 v83, v79, 0x80000
	v_lshrrev_b32_e32 v81, v79, v78
	v_add_nc_u32_e32 v79, v79, v72
	s_delay_alu instid0(VALU_DEP_4) | instskip(NEXT) | instid1(VALU_DEP_3)
	v_and_b32_e32 v78, v80, v78
	v_bfe_u32 v82, v81, 20, 1
	s_delay_alu instid0(VALU_DEP_2) | instskip(NEXT) | instid1(VALU_DEP_2)
	v_cmp_eq_u32_e64 s0, v78, v83
	v_add_nc_u32_e32 v80, -1, v82
	s_wait_alu 0xf1ff
	s_delay_alu instid0(VALU_DEP_1) | instskip(SKIP_2) | instid1(VALU_DEP_2)
	v_cndmask_b32_e64 v78, 0, v80, s0
	v_lshrrev_b32_e32 v80, 23, v81
	s_mov_b32 s0, exec_lo
	v_add_nc_u32_e32 v78, v78, v81
	s_delay_alu instid0(VALU_DEP_2) | instskip(NEXT) | instid1(VALU_DEP_2)
	v_xor_b32_e32 v80, 1, v80
	v_and_b32_e32 v72, 0xfffff, v78
	s_delay_alu instid0(VALU_DEP_1) | instskip(NEXT) | instid1(VALU_DEP_3)
	v_add_nc_u32_e32 v78, v72, v81
                                        ; implicit-def: $vgpr72
	v_cmpx_ne_u32_e64 v79, v80
	s_wait_alu 0xfffe
	s_xor_b32 s0, exec_lo, s0
; %bb.429:
	s_delay_alu instid0(VALU_DEP_2) | instskip(SKIP_3) | instid1(VALU_DEP_2)
	v_cmp_lt_u32_e32 vcc_lo, 0xffffff, v78
	v_sub_nc_u32_e32 v72, v79, v80
	s_wait_alu 0xfffd
	v_cndmask_b32_e64 v79, 0, 1, vcc_lo
	v_add_co_ci_u32_e64 v72, null, 0, v72, vcc_lo
	s_delay_alu instid0(VALU_DEP_2)
	v_lshrrev_b32_e32 v78, v79, v78
; %bb.430:
	s_wait_alu 0xfffe
	s_and_not1_saveexec_b32 s0, s0
; %bb.431:
	s_delay_alu instid0(VALU_DEP_1)
	v_bfe_u32 v72, v78, 23, 1
; %bb.432:
	s_wait_alu 0xfffe
	s_or_b32 exec_lo, exec_lo, s0
	v_lshrrev_b32_e32 v78, 20, v78
	s_delay_alu instid0(VALU_DEP_2) | instskip(SKIP_3) | instid1(VALU_DEP_2)
	v_cmp_gt_i32_e32 vcc_lo, 16, v72
	v_min_i32_e32 v79, 15, v72
	v_lshrrev_b32_e32 v73, 24, v73
	s_wait_alu 0xfffd
	v_dual_cndmask_b32 v78, 7, v78 :: v_dual_lshlrev_b32 v79, 3, v79
	s_delay_alu instid0(VALU_DEP_2) | instskip(NEXT) | instid1(VALU_DEP_2)
	v_and_b32_e32 v73, 0x80, v73
	v_or_b32_e32 v72, v72, v78
	v_and_b32_e32 v80, 7, v78
	s_delay_alu instid0(VALU_DEP_2) | instskip(SKIP_1) | instid1(VALU_DEP_1)
	v_cmp_ne_u32_e32 vcc_lo, 0, v72
	v_and_b32_e32 v79, 0xf8, v79
	v_or3_b32 v73, v73, v79, v80
	s_delay_alu instid0(VALU_DEP_1) | instskip(SKIP_1) | instid1(VALU_DEP_1)
	v_lshlrev_b32_e32 v73, 8, v73
	s_wait_alu 0xfffd
	v_cndmask_b32_e32 v72, 0, v73, vcc_lo
.LBB3_433:
	s_wait_alu 0xfffe
	s_or_b32 exec_lo, exec_lo, s6
.LBB3_434:
	s_delay_alu instid0(SALU_CYCLE_1) | instskip(SKIP_2) | instid1(VALU_DEP_2)
	s_or_b32 exec_lo, exec_lo, s2
	v_and_b32_e32 v73, 0x7f800000, v74
	v_wmma_f32_16x16x16_fp8_fp8 v[64:71], v[176:177], v[128:129], v[64:71]
	v_cmp_ne_u32_e32 vcc_lo, 0x7f800000, v73
	v_mov_b32_e32 v73, 0x800000
	s_and_saveexec_b32 s2, vcc_lo
	s_cbranch_execz .LBB3_442
; %bb.435:
	v_mov_b32_e32 v73, 0
	s_mov_b32 s6, exec_lo
	v_cmpx_ne_u32_e32 0, v74
	s_cbranch_execz .LBB3_441
; %bb.436:
	v_bfe_u32 v73, v74, 23, 8
	s_delay_alu instid0(VALU_DEP_1) | instskip(SKIP_2) | instid1(VALU_DEP_2)
	v_sub_nc_u32_e32 v79, 0x78, v73
	v_cmp_gt_u32_e32 vcc_lo, 0x79, v73
	s_wait_alu 0xfffd
	v_dual_cndmask_b32 v79, 0, v79 :: v_dual_and_b32 v78, 0x7fffff, v74
	s_delay_alu instid0(VALU_DEP_1) | instskip(SKIP_2) | instid1(VALU_DEP_2)
	v_or_b32_e32 v80, 0x800000, v78
	v_cmp_eq_u32_e32 vcc_lo, 0, v73
	s_wait_alu 0xfffd
	v_dual_cndmask_b32 v78, v80, v78 :: v_dual_add_nc_u32 v73, 0xffffff89, v73
	v_cndmask_b32_e64 v79, v79, 0x77, vcc_lo
	s_delay_alu instid0(VALU_DEP_2) | instskip(NEXT) | instid1(VALU_DEP_2)
	v_cndmask_b32_e64 v73, v73, 0xffffff8a, vcc_lo
	v_lshrrev_b32_e32 v81, v79, v78
	v_lshl_add_u32 v80, 0x100000, v79, -1
	v_lshlrev_b32_e64 v83, v79, 0x80000
	s_delay_alu instid0(VALU_DEP_4) | instskip(NEXT) | instid1(VALU_DEP_4)
	v_add_nc_u32_e32 v79, v79, v73
	v_bfe_u32 v82, v81, 20, 1
	s_delay_alu instid0(VALU_DEP_4) | instskip(NEXT) | instid1(VALU_DEP_2)
	v_and_b32_e32 v78, v80, v78
	v_add_nc_u32_e32 v80, -1, v82
	s_delay_alu instid0(VALU_DEP_2) | instskip(SKIP_1) | instid1(VALU_DEP_1)
	v_cmp_eq_u32_e64 s0, v78, v83
	s_wait_alu 0xf1ff
	v_cndmask_b32_e64 v78, 0, v80, s0
	v_lshrrev_b32_e32 v80, 23, v81
	s_mov_b32 s0, exec_lo
	s_delay_alu instid0(VALU_DEP_2) | instskip(NEXT) | instid1(VALU_DEP_2)
	v_add_nc_u32_e32 v78, v78, v81
	v_xor_b32_e32 v80, 1, v80
	s_delay_alu instid0(VALU_DEP_2) | instskip(NEXT) | instid1(VALU_DEP_1)
	v_and_b32_e32 v73, 0xfffff, v78
	v_add_nc_u32_e32 v78, v73, v81
                                        ; implicit-def: $vgpr73
	s_delay_alu instid0(VALU_DEP_3)
	v_cmpx_ne_u32_e64 v79, v80
	s_wait_alu 0xfffe
	s_xor_b32 s0, exec_lo, s0
; %bb.437:
	s_delay_alu instid0(VALU_DEP_2) | instskip(SKIP_3) | instid1(VALU_DEP_2)
	v_cmp_lt_u32_e32 vcc_lo, 0xffffff, v78
	v_sub_nc_u32_e32 v73, v79, v80
	s_wait_alu 0xfffd
	v_cndmask_b32_e64 v79, 0, 1, vcc_lo
	v_add_co_ci_u32_e64 v73, null, 0, v73, vcc_lo
	s_delay_alu instid0(VALU_DEP_2)
	v_lshrrev_b32_e32 v78, v79, v78
; %bb.438:
	s_wait_alu 0xfffe
	s_and_not1_saveexec_b32 s0, s0
; %bb.439:
	s_delay_alu instid0(VALU_DEP_1)
	v_bfe_u32 v73, v78, 23, 1
; %bb.440:
	s_wait_alu 0xfffe
	s_or_b32 exec_lo, exec_lo, s0
	v_lshrrev_b32_e32 v78, 20, v78
	s_delay_alu instid0(VALU_DEP_2) | instskip(SKIP_3) | instid1(VALU_DEP_3)
	v_min_i32_e32 v79, 15, v73
	v_cmp_gt_i32_e32 vcc_lo, 16, v73
	v_lshrrev_b32_e32 v74, 24, v74
	s_wait_alu 0xfffd
	v_dual_cndmask_b32 v78, 7, v78 :: v_dual_lshlrev_b32 v79, 3, v79
	s_delay_alu instid0(VALU_DEP_2) | instskip(NEXT) | instid1(VALU_DEP_2)
	v_and_b32_e32 v74, 0x80, v74
	v_and_b32_e32 v79, 0xf8, v79
	s_delay_alu instid0(VALU_DEP_3) | instskip(SKIP_1) | instid1(VALU_DEP_2)
	v_and_b32_e32 v80, 7, v78
	v_or_b32_e32 v73, v73, v78
	v_or3_b32 v74, v74, v79, v80
	s_delay_alu instid0(VALU_DEP_2) | instskip(NEXT) | instid1(VALU_DEP_2)
	v_cmp_ne_u32_e32 vcc_lo, 0, v73
	v_lshlrev_b32_e32 v74, 16, v74
	s_wait_alu 0xfffd
	s_delay_alu instid0(VALU_DEP_1)
	v_cndmask_b32_e32 v73, 0, v74, vcc_lo
.LBB3_441:
	s_wait_alu 0xfffe
	s_or_b32 exec_lo, exec_lo, s6
.LBB3_442:
	s_delay_alu instid0(SALU_CYCLE_1) | instskip(SKIP_2) | instid1(VALU_DEP_2)
	s_or_b32 exec_lo, exec_lo, s2
	v_and_b32_e32 v74, 0x7f800000, v75
	v_wmma_f32_16x16x16_fp8_fp8 v[64:71], v[178:179], v[130:131], v[64:71]
	v_cmp_ne_u32_e32 vcc_lo, 0x7f800000, v74
	v_bfrev_b32_e32 v74, 1
	s_and_saveexec_b32 s2, vcc_lo
	s_cbranch_execz .LBB3_450
; %bb.443:
	v_mov_b32_e32 v74, 0
	s_mov_b32 s6, exec_lo
	v_cmpx_ne_u32_e32 0, v75
	s_cbranch_execz .LBB3_449
; %bb.444:
	v_bfe_u32 v74, v75, 23, 8
	v_and_b32_e32 v78, 0x7fffff, v75
	s_delay_alu instid0(VALU_DEP_2) | instskip(SKIP_1) | instid1(VALU_DEP_3)
	v_sub_nc_u32_e32 v79, 0x78, v74
	v_cmp_gt_u32_e32 vcc_lo, 0x79, v74
	v_or_b32_e32 v80, 0x800000, v78
	s_wait_alu 0xfffd
	s_delay_alu instid0(VALU_DEP_3)
	v_cndmask_b32_e32 v79, 0, v79, vcc_lo
	v_cmp_eq_u32_e32 vcc_lo, 0, v74
	v_add_nc_u32_e32 v74, 0xffffff89, v74
	s_wait_alu 0xfffd
	v_cndmask_b32_e32 v78, v80, v78, vcc_lo
	v_cndmask_b32_e64 v79, v79, 0x77, vcc_lo
	s_delay_alu instid0(VALU_DEP_3) | instskip(NEXT) | instid1(VALU_DEP_2)
	v_cndmask_b32_e64 v74, v74, 0xffffff8a, vcc_lo
	v_lshrrev_b32_e32 v81, v79, v78
	v_lshl_add_u32 v80, 0x100000, v79, -1
	v_lshlrev_b32_e64 v83, v79, 0x80000
	s_delay_alu instid0(VALU_DEP_4) | instskip(NEXT) | instid1(VALU_DEP_4)
	v_add_nc_u32_e32 v79, v79, v74
	v_bfe_u32 v82, v81, 20, 1
	s_delay_alu instid0(VALU_DEP_4) | instskip(NEXT) | instid1(VALU_DEP_2)
	v_and_b32_e32 v78, v80, v78
	v_add_nc_u32_e32 v80, -1, v82
	s_delay_alu instid0(VALU_DEP_2) | instskip(SKIP_1) | instid1(VALU_DEP_1)
	v_cmp_eq_u32_e64 s0, v78, v83
	s_wait_alu 0xf1ff
	v_cndmask_b32_e64 v78, 0, v80, s0
	v_lshrrev_b32_e32 v80, 23, v81
	s_mov_b32 s0, exec_lo
	s_delay_alu instid0(VALU_DEP_2) | instskip(NEXT) | instid1(VALU_DEP_2)
	v_add_nc_u32_e32 v78, v78, v81
	v_xor_b32_e32 v80, 1, v80
	s_delay_alu instid0(VALU_DEP_2) | instskip(NEXT) | instid1(VALU_DEP_1)
	v_and_b32_e32 v74, 0xfffff, v78
	v_add_nc_u32_e32 v78, v74, v81
                                        ; implicit-def: $vgpr74
	s_delay_alu instid0(VALU_DEP_3)
	v_cmpx_ne_u32_e64 v79, v80
	s_wait_alu 0xfffe
	s_xor_b32 s0, exec_lo, s0
; %bb.445:
	s_delay_alu instid0(VALU_DEP_2) | instskip(SKIP_3) | instid1(VALU_DEP_2)
	v_cmp_lt_u32_e32 vcc_lo, 0xffffff, v78
	v_sub_nc_u32_e32 v74, v79, v80
	s_wait_alu 0xfffd
	v_cndmask_b32_e64 v79, 0, 1, vcc_lo
	v_add_co_ci_u32_e64 v74, null, 0, v74, vcc_lo
	s_delay_alu instid0(VALU_DEP_2)
	v_lshrrev_b32_e32 v78, v79, v78
; %bb.446:
	s_wait_alu 0xfffe
	s_and_not1_saveexec_b32 s0, s0
; %bb.447:
	s_delay_alu instid0(VALU_DEP_1)
	v_bfe_u32 v74, v78, 23, 1
; %bb.448:
	s_wait_alu 0xfffe
	s_or_b32 exec_lo, exec_lo, s0
	v_lshrrev_b32_e32 v78, 20, v78
	s_delay_alu instid0(VALU_DEP_2) | instskip(SKIP_3) | instid1(VALU_DEP_2)
	v_cmp_gt_i32_e32 vcc_lo, 16, v74
	v_lshrrev_b32_e32 v75, 24, v75
	v_min_i32_e32 v79, 15, v74
	s_wait_alu 0xfffd
	v_dual_cndmask_b32 v78, 7, v78 :: v_dual_and_b32 v75, 0x80, v75
	s_delay_alu instid0(VALU_DEP_2) | instskip(NEXT) | instid1(VALU_DEP_2)
	v_lshlrev_b32_e32 v79, 3, v79
	v_and_b32_e32 v80, 7, v78
	v_or_b32_e32 v74, v74, v78
	s_delay_alu instid0(VALU_DEP_2) | instskip(NEXT) | instid1(VALU_DEP_2)
	v_or3_b32 v75, v75, v79, v80
	v_cmp_ne_u32_e32 vcc_lo, 0, v74
	s_delay_alu instid0(VALU_DEP_2) | instskip(SKIP_1) | instid1(VALU_DEP_1)
	v_lshlrev_b32_e32 v75, 24, v75
	s_wait_alu 0xfffd
	v_cndmask_b32_e32 v74, 0, v75, vcc_lo
.LBB3_449:
	s_wait_alu 0xfffe
	s_or_b32 exec_lo, exec_lo, s6
.LBB3_450:
	s_delay_alu instid0(SALU_CYCLE_1) | instskip(SKIP_3) | instid1(VALU_DEP_1)
	s_or_b32 exec_lo, exec_lo, s2
	v_or_b32_e32 v72, v72, v77
	s_mov_b32 s0, s14
	s_mov_b32 s2, s5
	v_or3_b32 v72, v73, v72, v74
	buffer_store_b32 v72, v76, s[0:3], null offen offset:4
	s_wait_dscnt 0x0
	s_barrier_signal -1
	s_barrier_wait -1
	ds_store_2addr_stride64_b32 v209, v64, v65 offset1:1
	ds_store_2addr_stride64_b32 v209, v66, v67 offset0:2 offset1:3
	ds_store_2addr_stride64_b32 v209, v68, v69 offset0:4 offset1:5
	;; [unrolled: 1-line block ×3, first 2 shown]
	s_wait_dscnt 0x0
	s_barrier_signal -1
	s_barrier_wait -1
	ds_load_b128 v[64:67], v208
	s_wait_dscnt 0x0
	v_and_b32_e32 v68, 0x7f800000, v64
	s_delay_alu instid0(VALU_DEP_1)
	v_cmp_ne_u32_e32 vcc_lo, 0x7f800000, v68
	v_mov_b32_e32 v68, 0x80
	s_and_saveexec_b32 s2, vcc_lo
	s_cbranch_execz .LBB3_458
; %bb.451:
	v_mov_b32_e32 v68, 0
	s_mov_b32 s6, exec_lo
	v_cmpx_ne_u32_e32 0, v64
	s_cbranch_execz .LBB3_457
; %bb.452:
	v_bfe_u32 v68, v64, 23, 8
	s_delay_alu instid0(VALU_DEP_1) | instskip(SKIP_2) | instid1(VALU_DEP_2)
	v_sub_nc_u32_e32 v70, 0x78, v68
	v_cmp_gt_u32_e32 vcc_lo, 0x79, v68
	s_wait_alu 0xfffd
	v_dual_cndmask_b32 v70, 0, v70 :: v_dual_and_b32 v69, 0x7fffff, v64
	s_delay_alu instid0(VALU_DEP_1) | instskip(SKIP_2) | instid1(VALU_DEP_2)
	v_or_b32_e32 v71, 0x800000, v69
	v_cmp_eq_u32_e32 vcc_lo, 0, v68
	s_wait_alu 0xfffd
	v_dual_cndmask_b32 v69, v71, v69 :: v_dual_add_nc_u32 v68, 0xffffff89, v68
	v_cndmask_b32_e64 v70, v70, 0x77, vcc_lo
	s_delay_alu instid0(VALU_DEP_2) | instskip(NEXT) | instid1(VALU_DEP_2)
	v_cndmask_b32_e64 v68, v68, 0xffffff8a, vcc_lo
	v_lshrrev_b32_e32 v72, v70, v69
	v_lshl_add_u32 v71, 0x100000, v70, -1
	v_lshlrev_b32_e64 v74, v70, 0x80000
	s_delay_alu instid0(VALU_DEP_4) | instskip(NEXT) | instid1(VALU_DEP_4)
	v_add_nc_u32_e32 v70, v70, v68
	v_bfe_u32 v73, v72, 20, 1
	s_delay_alu instid0(VALU_DEP_4) | instskip(NEXT) | instid1(VALU_DEP_2)
	v_and_b32_e32 v69, v71, v69
	v_add_nc_u32_e32 v71, -1, v73
	s_delay_alu instid0(VALU_DEP_2) | instskip(SKIP_1) | instid1(VALU_DEP_1)
	v_cmp_eq_u32_e64 s0, v69, v74
	s_wait_alu 0xf1ff
	v_cndmask_b32_e64 v69, 0, v71, s0
	v_lshrrev_b32_e32 v71, 23, v72
	s_mov_b32 s0, exec_lo
	s_delay_alu instid0(VALU_DEP_2) | instskip(NEXT) | instid1(VALU_DEP_2)
	v_add_nc_u32_e32 v69, v69, v72
	v_xor_b32_e32 v71, 1, v71
	s_delay_alu instid0(VALU_DEP_2) | instskip(NEXT) | instid1(VALU_DEP_1)
	v_and_b32_e32 v68, 0xfffff, v69
	v_add_nc_u32_e32 v69, v68, v72
                                        ; implicit-def: $vgpr68
	s_delay_alu instid0(VALU_DEP_3)
	v_cmpx_ne_u32_e64 v70, v71
	s_wait_alu 0xfffe
	s_xor_b32 s0, exec_lo, s0
; %bb.453:
	s_delay_alu instid0(VALU_DEP_2) | instskip(SKIP_3) | instid1(VALU_DEP_2)
	v_cmp_lt_u32_e32 vcc_lo, 0xffffff, v69
	v_sub_nc_u32_e32 v68, v70, v71
	s_wait_alu 0xfffd
	v_cndmask_b32_e64 v70, 0, 1, vcc_lo
	v_add_co_ci_u32_e64 v68, null, 0, v68, vcc_lo
	s_delay_alu instid0(VALU_DEP_2)
	v_lshrrev_b32_e32 v69, v70, v69
; %bb.454:
	s_wait_alu 0xfffe
	s_and_not1_saveexec_b32 s0, s0
; %bb.455:
	s_delay_alu instid0(VALU_DEP_1)
	v_bfe_u32 v68, v69, 23, 1
; %bb.456:
	s_wait_alu 0xfffe
	s_or_b32 exec_lo, exec_lo, s0
	v_lshrrev_b32_e32 v69, 20, v69
	s_delay_alu instid0(VALU_DEP_2) | instskip(SKIP_3) | instid1(VALU_DEP_2)
	v_cmp_gt_i32_e32 vcc_lo, 16, v68
	v_min_i32_e32 v70, 15, v68
	v_lshrrev_b32_e32 v64, 24, v64
	s_wait_alu 0xfffd
	v_dual_cndmask_b32 v69, 7, v69 :: v_dual_lshlrev_b32 v70, 3, v70
	s_delay_alu instid0(VALU_DEP_2) | instskip(NEXT) | instid1(VALU_DEP_2)
	v_and_b32_e32 v64, 0x80, v64
	v_or_b32_e32 v68, v68, v69
	s_delay_alu instid0(VALU_DEP_3) | instskip(NEXT) | instid1(VALU_DEP_2)
	v_and_b32_e32 v70, 0xf8, v70
	v_cmp_ne_u32_e32 vcc_lo, 0, v68
	v_and_b32_e32 v71, 7, v69
	s_delay_alu instid0(VALU_DEP_1) | instskip(SKIP_1) | instid1(VALU_DEP_1)
	v_or3_b32 v64, v70, v64, v71
	s_wait_alu 0xfffd
	v_cndmask_b32_e32 v68, 0, v64, vcc_lo
.LBB3_457:
	s_wait_alu 0xfffe
	s_or_b32 exec_lo, exec_lo, s6
.LBB3_458:
	s_delay_alu instid0(SALU_CYCLE_1) | instskip(SKIP_3) | instid1(VALU_DEP_2)
	s_or_b32 exec_lo, exec_lo, s2
	v_and_b32_e32 v64, 0x7f800000, v65
	v_mov_b32_e32 v69, 0x8000
	s_mov_b32 s2, exec_lo
	v_cmpx_ne_u32_e32 0x7f800000, v64
	s_cbranch_execz .LBB3_466
; %bb.459:
	v_mov_b32_e32 v69, 0
	s_mov_b32 s6, exec_lo
	v_cmpx_ne_u32_e32 0, v65
	s_cbranch_execz .LBB3_465
; %bb.460:
	v_bfe_u32 v64, v65, 23, 8
	s_delay_alu instid0(VALU_DEP_1) | instskip(SKIP_2) | instid1(VALU_DEP_2)
	v_sub_nc_u32_e32 v70, 0x78, v64
	v_cmp_gt_u32_e32 vcc_lo, 0x79, v64
	s_wait_alu 0xfffd
	v_dual_cndmask_b32 v70, 0, v70 :: v_dual_and_b32 v69, 0x7fffff, v65
	s_delay_alu instid0(VALU_DEP_1) | instskip(SKIP_2) | instid1(VALU_DEP_2)
	v_or_b32_e32 v71, 0x800000, v69
	v_cmp_eq_u32_e32 vcc_lo, 0, v64
	s_wait_alu 0xfffd
	v_dual_cndmask_b32 v69, v71, v69 :: v_dual_add_nc_u32 v64, 0xffffff89, v64
	v_cndmask_b32_e64 v70, v70, 0x77, vcc_lo
	s_delay_alu instid0(VALU_DEP_2) | instskip(NEXT) | instid1(VALU_DEP_2)
	v_cndmask_b32_e64 v64, v64, 0xffffff8a, vcc_lo
	v_lshrrev_b32_e32 v72, v70, v69
	v_lshl_add_u32 v71, 0x100000, v70, -1
	v_lshlrev_b32_e64 v74, v70, 0x80000
	s_delay_alu instid0(VALU_DEP_4) | instskip(NEXT) | instid1(VALU_DEP_4)
	v_add_nc_u32_e32 v70, v70, v64
	v_bfe_u32 v73, v72, 20, 1
	s_delay_alu instid0(VALU_DEP_4) | instskip(NEXT) | instid1(VALU_DEP_2)
	v_and_b32_e32 v69, v71, v69
	v_add_nc_u32_e32 v71, -1, v73
	s_delay_alu instid0(VALU_DEP_2) | instskip(SKIP_1) | instid1(VALU_DEP_1)
	v_cmp_eq_u32_e64 s0, v69, v74
	s_wait_alu 0xf1ff
	v_cndmask_b32_e64 v69, 0, v71, s0
	v_lshrrev_b32_e32 v71, 23, v72
	s_mov_b32 s0, exec_lo
	s_delay_alu instid0(VALU_DEP_2) | instskip(NEXT) | instid1(VALU_DEP_2)
	v_add_nc_u32_e32 v69, v69, v72
	v_xor_b32_e32 v71, 1, v71
	s_delay_alu instid0(VALU_DEP_2) | instskip(NEXT) | instid1(VALU_DEP_1)
	v_and_b32_e32 v64, 0xfffff, v69
	v_add_nc_u32_e32 v69, v64, v72
                                        ; implicit-def: $vgpr64
	s_delay_alu instid0(VALU_DEP_3)
	v_cmpx_ne_u32_e64 v70, v71
	s_wait_alu 0xfffe
	s_xor_b32 s0, exec_lo, s0
; %bb.461:
	s_delay_alu instid0(VALU_DEP_2) | instskip(SKIP_3) | instid1(VALU_DEP_2)
	v_cmp_lt_u32_e32 vcc_lo, 0xffffff, v69
	v_sub_nc_u32_e32 v64, v70, v71
	s_wait_alu 0xfffd
	v_cndmask_b32_e64 v70, 0, 1, vcc_lo
	v_add_co_ci_u32_e64 v64, null, 0, v64, vcc_lo
	s_delay_alu instid0(VALU_DEP_2)
	v_lshrrev_b32_e32 v69, v70, v69
; %bb.462:
	s_wait_alu 0xfffe
	s_and_not1_saveexec_b32 s0, s0
; %bb.463:
	s_delay_alu instid0(VALU_DEP_1)
	v_bfe_u32 v64, v69, 23, 1
; %bb.464:
	s_wait_alu 0xfffe
	s_or_b32 exec_lo, exec_lo, s0
	v_lshrrev_b32_e32 v69, 20, v69
	s_delay_alu instid0(VALU_DEP_2) | instskip(SKIP_3) | instid1(VALU_DEP_2)
	v_cmp_gt_i32_e32 vcc_lo, 16, v64
	v_min_i32_e32 v70, 15, v64
	v_lshrrev_b32_e32 v65, 24, v65
	s_wait_alu 0xfffd
	v_dual_cndmask_b32 v69, 7, v69 :: v_dual_lshlrev_b32 v70, 3, v70
	s_delay_alu instid0(VALU_DEP_2) | instskip(NEXT) | instid1(VALU_DEP_2)
	v_and_b32_e32 v65, 0x80, v65
	v_or_b32_e32 v64, v64, v69
	v_and_b32_e32 v71, 7, v69
	s_delay_alu instid0(VALU_DEP_2) | instskip(SKIP_1) | instid1(VALU_DEP_1)
	v_cmp_ne_u32_e32 vcc_lo, 0, v64
	v_and_b32_e32 v70, 0xf8, v70
	v_or3_b32 v65, v65, v70, v71
	s_delay_alu instid0(VALU_DEP_1) | instskip(SKIP_1) | instid1(VALU_DEP_1)
	v_lshlrev_b32_e32 v65, 8, v65
	s_wait_alu 0xfffd
	v_cndmask_b32_e32 v69, 0, v65, vcc_lo
.LBB3_465:
	s_wait_alu 0xfffe
	s_or_b32 exec_lo, exec_lo, s6
.LBB3_466:
	s_delay_alu instid0(SALU_CYCLE_1) | instskip(SKIP_3) | instid1(VALU_DEP_2)
	s_or_b32 exec_lo, exec_lo, s2
	v_and_b32_e32 v64, 0x7f800000, v66
	v_mov_b32_e32 v70, 0x800000
	s_mov_b32 s2, exec_lo
	v_cmpx_ne_u32_e32 0x7f800000, v64
	s_cbranch_execz .LBB3_474
; %bb.467:
	v_mov_b32_e32 v70, 0
	s_mov_b32 s6, exec_lo
	v_cmpx_ne_u32_e32 0, v66
	s_cbranch_execz .LBB3_473
; %bb.468:
	v_bfe_u32 v64, v66, 23, 8
	v_and_b32_e32 v65, 0x7fffff, v66
	s_delay_alu instid0(VALU_DEP_2) | instskip(SKIP_1) | instid1(VALU_DEP_3)
	v_sub_nc_u32_e32 v70, 0x78, v64
	v_cmp_gt_u32_e32 vcc_lo, 0x79, v64
	v_or_b32_e32 v71, 0x800000, v65
	s_wait_alu 0xfffd
	s_delay_alu instid0(VALU_DEP_3) | instskip(SKIP_3) | instid1(VALU_DEP_3)
	v_cndmask_b32_e32 v70, 0, v70, vcc_lo
	v_cmp_eq_u32_e32 vcc_lo, 0, v64
	s_wait_alu 0xfffd
	v_dual_cndmask_b32 v65, v71, v65 :: v_dual_add_nc_u32 v64, 0xffffff89, v64
	v_cndmask_b32_e64 v70, v70, 0x77, vcc_lo
	s_delay_alu instid0(VALU_DEP_2) | instskip(NEXT) | instid1(VALU_DEP_2)
	v_cndmask_b32_e64 v64, v64, 0xffffff8a, vcc_lo
	v_lshrrev_b32_e32 v72, v70, v65
	v_lshl_add_u32 v71, 0x100000, v70, -1
	v_lshlrev_b32_e64 v74, v70, 0x80000
	s_delay_alu instid0(VALU_DEP_4) | instskip(NEXT) | instid1(VALU_DEP_4)
	v_add_nc_u32_e32 v70, v70, v64
	v_bfe_u32 v73, v72, 20, 1
	s_delay_alu instid0(VALU_DEP_4) | instskip(NEXT) | instid1(VALU_DEP_2)
	v_and_b32_e32 v65, v71, v65
	v_add_nc_u32_e32 v71, -1, v73
	s_delay_alu instid0(VALU_DEP_2) | instskip(SKIP_1) | instid1(VALU_DEP_1)
	v_cmp_eq_u32_e64 s0, v65, v74
	s_wait_alu 0xf1ff
	v_cndmask_b32_e64 v65, 0, v71, s0
	v_lshrrev_b32_e32 v71, 23, v72
	s_mov_b32 s0, exec_lo
	s_delay_alu instid0(VALU_DEP_2) | instskip(NEXT) | instid1(VALU_DEP_2)
	v_add_nc_u32_e32 v65, v65, v72
	v_xor_b32_e32 v71, 1, v71
	s_delay_alu instid0(VALU_DEP_2) | instskip(NEXT) | instid1(VALU_DEP_1)
	v_and_b32_e32 v64, 0xfffff, v65
	v_add_nc_u32_e32 v65, v64, v72
                                        ; implicit-def: $vgpr64
	s_delay_alu instid0(VALU_DEP_3)
	v_cmpx_ne_u32_e64 v70, v71
	s_wait_alu 0xfffe
	s_xor_b32 s0, exec_lo, s0
; %bb.469:
	s_delay_alu instid0(VALU_DEP_2) | instskip(SKIP_3) | instid1(VALU_DEP_2)
	v_cmp_lt_u32_e32 vcc_lo, 0xffffff, v65
	v_sub_nc_u32_e32 v64, v70, v71
	s_wait_alu 0xfffd
	v_cndmask_b32_e64 v70, 0, 1, vcc_lo
	v_add_co_ci_u32_e64 v64, null, 0, v64, vcc_lo
	s_delay_alu instid0(VALU_DEP_2)
	v_lshrrev_b32_e32 v65, v70, v65
; %bb.470:
	s_wait_alu 0xfffe
	s_and_not1_saveexec_b32 s0, s0
; %bb.471:
	s_delay_alu instid0(VALU_DEP_1)
	v_bfe_u32 v64, v65, 23, 1
; %bb.472:
	s_wait_alu 0xfffe
	s_or_b32 exec_lo, exec_lo, s0
	v_lshrrev_b32_e32 v65, 20, v65
	s_delay_alu instid0(VALU_DEP_2) | instskip(SKIP_3) | instid1(VALU_DEP_3)
	v_min_i32_e32 v70, 15, v64
	v_cmp_gt_i32_e32 vcc_lo, 16, v64
	v_lshrrev_b32_e32 v66, 24, v66
	s_wait_alu 0xfffd
	v_dual_cndmask_b32 v65, 7, v65 :: v_dual_lshlrev_b32 v70, 3, v70
	s_delay_alu instid0(VALU_DEP_2) | instskip(NEXT) | instid1(VALU_DEP_2)
	v_and_b32_e32 v66, 0x80, v66
	v_and_b32_e32 v70, 0xf8, v70
	s_delay_alu instid0(VALU_DEP_3) | instskip(SKIP_1) | instid1(VALU_DEP_2)
	v_and_b32_e32 v71, 7, v65
	v_or_b32_e32 v64, v64, v65
	v_or3_b32 v66, v66, v70, v71
	s_delay_alu instid0(VALU_DEP_2) | instskip(NEXT) | instid1(VALU_DEP_2)
	v_cmp_ne_u32_e32 vcc_lo, 0, v64
	v_lshlrev_b32_e32 v65, 16, v66
	s_wait_alu 0xfffd
	s_delay_alu instid0(VALU_DEP_1)
	v_cndmask_b32_e32 v70, 0, v65, vcc_lo
.LBB3_473:
	s_wait_alu 0xfffe
	s_or_b32 exec_lo, exec_lo, s6
.LBB3_474:
	s_delay_alu instid0(SALU_CYCLE_1) | instskip(SKIP_3) | instid1(VALU_DEP_2)
	s_or_b32 exec_lo, exec_lo, s2
	v_and_b32_e32 v64, 0x7f800000, v67
	v_bfrev_b32_e32 v71, 1
	s_mov_b32 s2, exec_lo
	v_cmpx_ne_u32_e32 0x7f800000, v64
	s_cbranch_execz .LBB3_482
; %bb.475:
	v_mov_b32_e32 v71, 0
	s_mov_b32 s6, exec_lo
	v_cmpx_ne_u32_e32 0, v67
	s_cbranch_execz .LBB3_481
; %bb.476:
	v_bfe_u32 v64, v67, 23, 8
	s_delay_alu instid0(VALU_DEP_1) | instskip(SKIP_2) | instid1(VALU_DEP_2)
	v_sub_nc_u32_e32 v66, 0x78, v64
	v_cmp_gt_u32_e32 vcc_lo, 0x79, v64
	s_wait_alu 0xfffd
	v_dual_cndmask_b32 v66, 0, v66 :: v_dual_and_b32 v65, 0x7fffff, v67
	s_delay_alu instid0(VALU_DEP_1) | instskip(SKIP_2) | instid1(VALU_DEP_2)
	v_or_b32_e32 v71, 0x800000, v65
	v_cmp_eq_u32_e32 vcc_lo, 0, v64
	s_wait_alu 0xfffd
	v_dual_cndmask_b32 v65, v71, v65 :: v_dual_add_nc_u32 v64, 0xffffff89, v64
	v_cndmask_b32_e64 v66, v66, 0x77, vcc_lo
	s_delay_alu instid0(VALU_DEP_2) | instskip(NEXT) | instid1(VALU_DEP_2)
	v_cndmask_b32_e64 v64, v64, 0xffffff8a, vcc_lo
	v_lshrrev_b32_e32 v72, v66, v65
	v_lshl_add_u32 v71, 0x100000, v66, -1
	v_lshlrev_b32_e64 v74, v66, 0x80000
	s_delay_alu instid0(VALU_DEP_4) | instskip(NEXT) | instid1(VALU_DEP_4)
	v_add_nc_u32_e32 v66, v66, v64
	v_bfe_u32 v73, v72, 20, 1
	s_delay_alu instid0(VALU_DEP_4) | instskip(NEXT) | instid1(VALU_DEP_2)
	v_and_b32_e32 v65, v71, v65
	v_add_nc_u32_e32 v71, -1, v73
	s_delay_alu instid0(VALU_DEP_2) | instskip(SKIP_1) | instid1(VALU_DEP_1)
	v_cmp_eq_u32_e64 s0, v65, v74
	s_wait_alu 0xf1ff
	v_cndmask_b32_e64 v65, 0, v71, s0
	v_lshrrev_b32_e32 v71, 23, v72
	s_mov_b32 s0, exec_lo
	s_delay_alu instid0(VALU_DEP_2) | instskip(NEXT) | instid1(VALU_DEP_2)
	v_add_nc_u32_e32 v65, v65, v72
	v_xor_b32_e32 v71, 1, v71
	s_delay_alu instid0(VALU_DEP_2) | instskip(NEXT) | instid1(VALU_DEP_1)
	v_and_b32_e32 v64, 0xfffff, v65
	v_add_nc_u32_e32 v65, v64, v72
                                        ; implicit-def: $vgpr64
	s_delay_alu instid0(VALU_DEP_3)
	v_cmpx_ne_u32_e64 v66, v71
	s_wait_alu 0xfffe
	s_xor_b32 s0, exec_lo, s0
; %bb.477:
	s_delay_alu instid0(VALU_DEP_2) | instskip(SKIP_3) | instid1(VALU_DEP_2)
	v_cmp_lt_u32_e32 vcc_lo, 0xffffff, v65
	v_sub_nc_u32_e32 v64, v66, v71
	s_wait_alu 0xfffd
	v_cndmask_b32_e64 v66, 0, 1, vcc_lo
	v_add_co_ci_u32_e64 v64, null, 0, v64, vcc_lo
	s_delay_alu instid0(VALU_DEP_2)
	v_lshrrev_b32_e32 v65, v66, v65
; %bb.478:
	s_wait_alu 0xfffe
	s_and_not1_saveexec_b32 s0, s0
; %bb.479:
	s_delay_alu instid0(VALU_DEP_1)
	v_bfe_u32 v64, v65, 23, 1
; %bb.480:
	s_wait_alu 0xfffe
	s_or_b32 exec_lo, exec_lo, s0
	v_lshrrev_b32_e32 v65, 20, v65
	s_delay_alu instid0(VALU_DEP_2) | instskip(SKIP_3) | instid1(VALU_DEP_2)
	v_cmp_gt_i32_e32 vcc_lo, 16, v64
	v_lshrrev_b32_e32 v66, 24, v67
	v_min_i32_e32 v67, 15, v64
	s_wait_alu 0xfffd
	v_dual_cndmask_b32 v65, 7, v65 :: v_dual_and_b32 v66, 0x80, v66
	s_delay_alu instid0(VALU_DEP_2) | instskip(NEXT) | instid1(VALU_DEP_2)
	v_lshlrev_b32_e32 v67, 3, v67
	v_and_b32_e32 v71, 7, v65
	v_or_b32_e32 v64, v64, v65
	s_delay_alu instid0(VALU_DEP_2) | instskip(NEXT) | instid1(VALU_DEP_2)
	v_or3_b32 v66, v66, v67, v71
	v_cmp_ne_u32_e32 vcc_lo, 0, v64
	s_delay_alu instid0(VALU_DEP_2) | instskip(SKIP_1) | instid1(VALU_DEP_1)
	v_lshlrev_b32_e32 v65, 24, v66
	s_wait_alu 0xfffd
	v_cndmask_b32_e32 v71, 0, v65, vcc_lo
.LBB3_481:
	s_wait_alu 0xfffe
	s_or_b32 exec_lo, exec_lo, s6
.LBB3_482:
	s_delay_alu instid0(SALU_CYCLE_1)
	s_or_b32 exec_lo, exec_lo, s2
	ds_load_b128 v[64:67], v208 offset:16
	v_or_b32_e32 v69, v69, v68
	v_add_nc_u32_e32 v68, s4, v92
	v_wmma_f32_16x16x16_fp8_fp8 v[56:63], v[172:173], v[136:137], v[56:63]
	s_mov_b32 s0, s14
	s_mov_b32 s2, s5
	v_or3_b32 v70, v70, v69, v71
	v_mov_b32_e32 v69, 0x80
	buffer_store_b32 v70, v68, s[0:3], null offen
	s_mov_b32 s2, exec_lo
	s_wait_dscnt 0x0
	v_and_b32_e32 v72, 0x7f800000, v64
	s_delay_alu instid0(VALU_DEP_1)
	v_cmpx_ne_u32_e32 0x7f800000, v72
	s_cbranch_execz .LBB3_490
; %bb.483:
	v_mov_b32_e32 v69, 0
	s_mov_b32 s6, exec_lo
	v_cmpx_ne_u32_e32 0, v64
	s_cbranch_execz .LBB3_489
; %bb.484:
	v_bfe_u32 v69, v64, 23, 8
	s_delay_alu instid0(VALU_DEP_1) | instskip(SKIP_2) | instid1(VALU_DEP_2)
	v_sub_nc_u32_e32 v71, 0x78, v69
	v_cmp_gt_u32_e32 vcc_lo, 0x79, v69
	s_wait_alu 0xfffd
	v_dual_cndmask_b32 v71, 0, v71 :: v_dual_and_b32 v70, 0x7fffff, v64
	s_delay_alu instid0(VALU_DEP_1) | instskip(SKIP_2) | instid1(VALU_DEP_2)
	v_or_b32_e32 v72, 0x800000, v70
	v_cmp_eq_u32_e32 vcc_lo, 0, v69
	s_wait_alu 0xfffd
	v_dual_cndmask_b32 v70, v72, v70 :: v_dual_add_nc_u32 v69, 0xffffff89, v69
	v_cndmask_b32_e64 v71, v71, 0x77, vcc_lo
	s_delay_alu instid0(VALU_DEP_2) | instskip(NEXT) | instid1(VALU_DEP_2)
	v_cndmask_b32_e64 v69, v69, 0xffffff8a, vcc_lo
	v_lshrrev_b32_e32 v73, v71, v70
	v_lshl_add_u32 v72, 0x100000, v71, -1
	v_lshlrev_b32_e64 v75, v71, 0x80000
	s_delay_alu instid0(VALU_DEP_4) | instskip(NEXT) | instid1(VALU_DEP_4)
	v_add_nc_u32_e32 v71, v71, v69
	v_bfe_u32 v74, v73, 20, 1
	s_delay_alu instid0(VALU_DEP_4) | instskip(NEXT) | instid1(VALU_DEP_2)
	v_and_b32_e32 v70, v72, v70
	v_add_nc_u32_e32 v72, -1, v74
	s_delay_alu instid0(VALU_DEP_2) | instskip(SKIP_1) | instid1(VALU_DEP_1)
	v_cmp_eq_u32_e64 s0, v70, v75
	s_wait_alu 0xf1ff
	v_cndmask_b32_e64 v70, 0, v72, s0
	v_lshrrev_b32_e32 v72, 23, v73
	s_mov_b32 s0, exec_lo
	s_delay_alu instid0(VALU_DEP_2) | instskip(NEXT) | instid1(VALU_DEP_2)
	v_add_nc_u32_e32 v70, v70, v73
	v_xor_b32_e32 v72, 1, v72
	s_delay_alu instid0(VALU_DEP_2) | instskip(NEXT) | instid1(VALU_DEP_1)
	v_and_b32_e32 v69, 0xfffff, v70
	v_add_nc_u32_e32 v70, v69, v73
                                        ; implicit-def: $vgpr69
	s_delay_alu instid0(VALU_DEP_3)
	v_cmpx_ne_u32_e64 v71, v72
	s_wait_alu 0xfffe
	s_xor_b32 s0, exec_lo, s0
; %bb.485:
	s_delay_alu instid0(VALU_DEP_2) | instskip(SKIP_3) | instid1(VALU_DEP_2)
	v_cmp_lt_u32_e32 vcc_lo, 0xffffff, v70
	v_sub_nc_u32_e32 v69, v71, v72
	s_wait_alu 0xfffd
	v_cndmask_b32_e64 v71, 0, 1, vcc_lo
	v_add_co_ci_u32_e64 v69, null, 0, v69, vcc_lo
	s_delay_alu instid0(VALU_DEP_2)
	v_lshrrev_b32_e32 v70, v71, v70
; %bb.486:
	s_wait_alu 0xfffe
	s_and_not1_saveexec_b32 s0, s0
; %bb.487:
	s_delay_alu instid0(VALU_DEP_1)
	v_bfe_u32 v69, v70, 23, 1
; %bb.488:
	s_wait_alu 0xfffe
	s_or_b32 exec_lo, exec_lo, s0
	v_lshrrev_b32_e32 v70, 20, v70
	s_delay_alu instid0(VALU_DEP_2) | instskip(SKIP_3) | instid1(VALU_DEP_2)
	v_cmp_gt_i32_e32 vcc_lo, 16, v69
	v_min_i32_e32 v71, 15, v69
	v_lshrrev_b32_e32 v64, 24, v64
	s_wait_alu 0xfffd
	v_dual_cndmask_b32 v70, 7, v70 :: v_dual_lshlrev_b32 v71, 3, v71
	s_delay_alu instid0(VALU_DEP_2) | instskip(NEXT) | instid1(VALU_DEP_2)
	v_and_b32_e32 v64, 0x80, v64
	v_or_b32_e32 v69, v69, v70
	s_delay_alu instid0(VALU_DEP_3) | instskip(NEXT) | instid1(VALU_DEP_2)
	v_and_b32_e32 v71, 0xf8, v71
	v_cmp_ne_u32_e32 vcc_lo, 0, v69
	v_and_b32_e32 v72, 7, v70
	s_delay_alu instid0(VALU_DEP_1) | instskip(SKIP_1) | instid1(VALU_DEP_1)
	v_or3_b32 v64, v71, v64, v72
	s_wait_alu 0xfffd
	v_cndmask_b32_e32 v69, 0, v64, vcc_lo
.LBB3_489:
	s_wait_alu 0xfffe
	s_or_b32 exec_lo, exec_lo, s6
.LBB3_490:
	s_delay_alu instid0(SALU_CYCLE_1) | instskip(SKIP_2) | instid1(VALU_DEP_2)
	s_or_b32 exec_lo, exec_lo, s2
	v_and_b32_e32 v64, 0x7f800000, v65
	v_wmma_f32_16x16x16_fp8_fp8 v[56:63], v[174:175], v[138:139], v[56:63]
	v_cmp_ne_u32_e32 vcc_lo, 0x7f800000, v64
	v_mov_b32_e32 v64, 0x8000
	s_and_saveexec_b32 s2, vcc_lo
	s_cbranch_execz .LBB3_498
; %bb.491:
	v_mov_b32_e32 v64, 0
	s_mov_b32 s6, exec_lo
	v_cmpx_ne_u32_e32 0, v65
	s_cbranch_execz .LBB3_497
; %bb.492:
	v_bfe_u32 v64, v65, 23, 8
	s_delay_alu instid0(VALU_DEP_1) | instskip(SKIP_2) | instid1(VALU_DEP_2)
	v_sub_nc_u32_e32 v71, 0x78, v64
	v_cmp_gt_u32_e32 vcc_lo, 0x79, v64
	s_wait_alu 0xfffd
	v_dual_cndmask_b32 v71, 0, v71 :: v_dual_and_b32 v70, 0x7fffff, v65
	s_delay_alu instid0(VALU_DEP_1) | instskip(SKIP_4) | instid1(VALU_DEP_2)
	v_or_b32_e32 v72, 0x800000, v70
	v_cmp_eq_u32_e32 vcc_lo, 0, v64
	v_add_nc_u32_e32 v64, 0xffffff89, v64
	s_wait_alu 0xfffd
	v_cndmask_b32_e64 v71, v71, 0x77, vcc_lo
	v_cndmask_b32_e64 v64, v64, 0xffffff8a, vcc_lo
	v_cndmask_b32_e32 v70, v72, v70, vcc_lo
	s_delay_alu instid0(VALU_DEP_3) | instskip(SKIP_1) | instid1(VALU_DEP_3)
	v_lshl_add_u32 v72, 0x100000, v71, -1
	v_lshlrev_b32_e64 v75, v71, 0x80000
	v_lshrrev_b32_e32 v73, v71, v70
	v_add_nc_u32_e32 v71, v71, v64
	s_delay_alu instid0(VALU_DEP_4) | instskip(NEXT) | instid1(VALU_DEP_3)
	v_and_b32_e32 v70, v72, v70
	v_bfe_u32 v74, v73, 20, 1
	s_delay_alu instid0(VALU_DEP_2) | instskip(NEXT) | instid1(VALU_DEP_2)
	v_cmp_eq_u32_e64 s0, v70, v75
	v_add_nc_u32_e32 v72, -1, v74
	s_wait_alu 0xf1ff
	s_delay_alu instid0(VALU_DEP_1) | instskip(SKIP_2) | instid1(VALU_DEP_2)
	v_cndmask_b32_e64 v70, 0, v72, s0
	v_lshrrev_b32_e32 v72, 23, v73
	s_mov_b32 s0, exec_lo
	v_add_nc_u32_e32 v70, v70, v73
	s_delay_alu instid0(VALU_DEP_2) | instskip(NEXT) | instid1(VALU_DEP_2)
	v_xor_b32_e32 v72, 1, v72
	v_and_b32_e32 v64, 0xfffff, v70
	s_delay_alu instid0(VALU_DEP_1) | instskip(NEXT) | instid1(VALU_DEP_3)
	v_add_nc_u32_e32 v70, v64, v73
                                        ; implicit-def: $vgpr64
	v_cmpx_ne_u32_e64 v71, v72
	s_wait_alu 0xfffe
	s_xor_b32 s0, exec_lo, s0
; %bb.493:
	s_delay_alu instid0(VALU_DEP_2) | instskip(SKIP_3) | instid1(VALU_DEP_2)
	v_cmp_lt_u32_e32 vcc_lo, 0xffffff, v70
	v_sub_nc_u32_e32 v64, v71, v72
	s_wait_alu 0xfffd
	v_cndmask_b32_e64 v71, 0, 1, vcc_lo
	v_add_co_ci_u32_e64 v64, null, 0, v64, vcc_lo
	s_delay_alu instid0(VALU_DEP_2)
	v_lshrrev_b32_e32 v70, v71, v70
; %bb.494:
	s_wait_alu 0xfffe
	s_and_not1_saveexec_b32 s0, s0
; %bb.495:
	s_delay_alu instid0(VALU_DEP_1)
	v_bfe_u32 v64, v70, 23, 1
; %bb.496:
	s_wait_alu 0xfffe
	s_or_b32 exec_lo, exec_lo, s0
	v_lshrrev_b32_e32 v70, 20, v70
	s_delay_alu instid0(VALU_DEP_2) | instskip(SKIP_3) | instid1(VALU_DEP_2)
	v_cmp_gt_i32_e32 vcc_lo, 16, v64
	v_min_i32_e32 v71, 15, v64
	v_lshrrev_b32_e32 v65, 24, v65
	s_wait_alu 0xfffd
	v_dual_cndmask_b32 v70, 7, v70 :: v_dual_lshlrev_b32 v71, 3, v71
	s_delay_alu instid0(VALU_DEP_2) | instskip(NEXT) | instid1(VALU_DEP_2)
	v_and_b32_e32 v65, 0x80, v65
	v_or_b32_e32 v64, v64, v70
	v_and_b32_e32 v72, 7, v70
	s_delay_alu instid0(VALU_DEP_2) | instskip(SKIP_1) | instid1(VALU_DEP_1)
	v_cmp_ne_u32_e32 vcc_lo, 0, v64
	v_and_b32_e32 v71, 0xf8, v71
	v_or3_b32 v65, v65, v71, v72
	s_delay_alu instid0(VALU_DEP_1) | instskip(SKIP_1) | instid1(VALU_DEP_1)
	v_lshlrev_b32_e32 v65, 8, v65
	s_wait_alu 0xfffd
	v_cndmask_b32_e32 v64, 0, v65, vcc_lo
.LBB3_497:
	s_wait_alu 0xfffe
	s_or_b32 exec_lo, exec_lo, s6
.LBB3_498:
	s_delay_alu instid0(SALU_CYCLE_1) | instskip(SKIP_2) | instid1(VALU_DEP_2)
	s_or_b32 exec_lo, exec_lo, s2
	v_and_b32_e32 v65, 0x7f800000, v66
	v_wmma_f32_16x16x16_fp8_fp8 v[56:63], v[168:169], v[128:129], v[56:63]
	v_cmp_ne_u32_e32 vcc_lo, 0x7f800000, v65
	v_mov_b32_e32 v65, 0x800000
	s_and_saveexec_b32 s2, vcc_lo
	s_cbranch_execz .LBB3_506
; %bb.499:
	v_mov_b32_e32 v65, 0
	s_mov_b32 s6, exec_lo
	v_cmpx_ne_u32_e32 0, v66
	s_cbranch_execz .LBB3_505
; %bb.500:
	v_bfe_u32 v65, v66, 23, 8
	s_delay_alu instid0(VALU_DEP_1) | instskip(SKIP_2) | instid1(VALU_DEP_2)
	v_sub_nc_u32_e32 v71, 0x78, v65
	v_cmp_gt_u32_e32 vcc_lo, 0x79, v65
	s_wait_alu 0xfffd
	v_dual_cndmask_b32 v71, 0, v71 :: v_dual_and_b32 v70, 0x7fffff, v66
	s_delay_alu instid0(VALU_DEP_1) | instskip(SKIP_2) | instid1(VALU_DEP_2)
	v_or_b32_e32 v72, 0x800000, v70
	v_cmp_eq_u32_e32 vcc_lo, 0, v65
	s_wait_alu 0xfffd
	v_dual_cndmask_b32 v70, v72, v70 :: v_dual_add_nc_u32 v65, 0xffffff89, v65
	v_cndmask_b32_e64 v71, v71, 0x77, vcc_lo
	s_delay_alu instid0(VALU_DEP_2) | instskip(NEXT) | instid1(VALU_DEP_2)
	v_cndmask_b32_e64 v65, v65, 0xffffff8a, vcc_lo
	v_lshrrev_b32_e32 v73, v71, v70
	v_lshl_add_u32 v72, 0x100000, v71, -1
	v_lshlrev_b32_e64 v75, v71, 0x80000
	s_delay_alu instid0(VALU_DEP_4) | instskip(NEXT) | instid1(VALU_DEP_4)
	v_add_nc_u32_e32 v71, v71, v65
	v_bfe_u32 v74, v73, 20, 1
	s_delay_alu instid0(VALU_DEP_4) | instskip(NEXT) | instid1(VALU_DEP_2)
	v_and_b32_e32 v70, v72, v70
	v_add_nc_u32_e32 v72, -1, v74
	s_delay_alu instid0(VALU_DEP_2) | instskip(SKIP_1) | instid1(VALU_DEP_1)
	v_cmp_eq_u32_e64 s0, v70, v75
	s_wait_alu 0xf1ff
	v_cndmask_b32_e64 v70, 0, v72, s0
	v_lshrrev_b32_e32 v72, 23, v73
	s_mov_b32 s0, exec_lo
	s_delay_alu instid0(VALU_DEP_2) | instskip(NEXT) | instid1(VALU_DEP_2)
	v_add_nc_u32_e32 v70, v70, v73
	v_xor_b32_e32 v72, 1, v72
	s_delay_alu instid0(VALU_DEP_2) | instskip(NEXT) | instid1(VALU_DEP_1)
	v_and_b32_e32 v65, 0xfffff, v70
	v_add_nc_u32_e32 v70, v65, v73
                                        ; implicit-def: $vgpr65
	s_delay_alu instid0(VALU_DEP_3)
	v_cmpx_ne_u32_e64 v71, v72
	s_wait_alu 0xfffe
	s_xor_b32 s0, exec_lo, s0
; %bb.501:
	s_delay_alu instid0(VALU_DEP_2) | instskip(SKIP_3) | instid1(VALU_DEP_2)
	v_cmp_lt_u32_e32 vcc_lo, 0xffffff, v70
	v_sub_nc_u32_e32 v65, v71, v72
	s_wait_alu 0xfffd
	v_cndmask_b32_e64 v71, 0, 1, vcc_lo
	v_add_co_ci_u32_e64 v65, null, 0, v65, vcc_lo
	s_delay_alu instid0(VALU_DEP_2)
	v_lshrrev_b32_e32 v70, v71, v70
; %bb.502:
	s_wait_alu 0xfffe
	s_and_not1_saveexec_b32 s0, s0
; %bb.503:
	s_delay_alu instid0(VALU_DEP_1)
	v_bfe_u32 v65, v70, 23, 1
; %bb.504:
	s_wait_alu 0xfffe
	s_or_b32 exec_lo, exec_lo, s0
	v_lshrrev_b32_e32 v70, 20, v70
	s_delay_alu instid0(VALU_DEP_2) | instskip(SKIP_3) | instid1(VALU_DEP_3)
	v_min_i32_e32 v71, 15, v65
	v_cmp_gt_i32_e32 vcc_lo, 16, v65
	v_lshrrev_b32_e32 v66, 24, v66
	s_wait_alu 0xfffd
	v_dual_cndmask_b32 v70, 7, v70 :: v_dual_lshlrev_b32 v71, 3, v71
	s_delay_alu instid0(VALU_DEP_2) | instskip(NEXT) | instid1(VALU_DEP_2)
	v_and_b32_e32 v66, 0x80, v66
	v_and_b32_e32 v71, 0xf8, v71
	s_delay_alu instid0(VALU_DEP_3) | instskip(SKIP_1) | instid1(VALU_DEP_2)
	v_and_b32_e32 v72, 7, v70
	v_or_b32_e32 v65, v65, v70
	v_or3_b32 v66, v66, v71, v72
	s_delay_alu instid0(VALU_DEP_2) | instskip(NEXT) | instid1(VALU_DEP_2)
	v_cmp_ne_u32_e32 vcc_lo, 0, v65
	v_lshlrev_b32_e32 v66, 16, v66
	s_wait_alu 0xfffd
	s_delay_alu instid0(VALU_DEP_1)
	v_cndmask_b32_e32 v65, 0, v66, vcc_lo
.LBB3_505:
	s_wait_alu 0xfffe
	s_or_b32 exec_lo, exec_lo, s6
.LBB3_506:
	s_delay_alu instid0(SALU_CYCLE_1) | instskip(SKIP_2) | instid1(VALU_DEP_2)
	s_or_b32 exec_lo, exec_lo, s2
	v_and_b32_e32 v66, 0x7f800000, v67
	v_wmma_f32_16x16x16_fp8_fp8 v[56:63], v[170:171], v[130:131], v[56:63]
	v_cmp_ne_u32_e32 vcc_lo, 0x7f800000, v66
	v_bfrev_b32_e32 v66, 1
	s_and_saveexec_b32 s2, vcc_lo
	s_cbranch_execz .LBB3_514
; %bb.507:
	v_mov_b32_e32 v66, 0
	s_mov_b32 s6, exec_lo
	v_cmpx_ne_u32_e32 0, v67
	s_cbranch_execz .LBB3_513
; %bb.508:
	v_bfe_u32 v66, v67, 23, 8
	v_and_b32_e32 v70, 0x7fffff, v67
	s_delay_alu instid0(VALU_DEP_2) | instskip(SKIP_1) | instid1(VALU_DEP_3)
	v_sub_nc_u32_e32 v71, 0x78, v66
	v_cmp_gt_u32_e32 vcc_lo, 0x79, v66
	v_or_b32_e32 v72, 0x800000, v70
	s_wait_alu 0xfffd
	s_delay_alu instid0(VALU_DEP_3)
	v_cndmask_b32_e32 v71, 0, v71, vcc_lo
	v_cmp_eq_u32_e32 vcc_lo, 0, v66
	v_add_nc_u32_e32 v66, 0xffffff89, v66
	s_wait_alu 0xfffd
	v_cndmask_b32_e32 v70, v72, v70, vcc_lo
	v_cndmask_b32_e64 v71, v71, 0x77, vcc_lo
	s_delay_alu instid0(VALU_DEP_3) | instskip(NEXT) | instid1(VALU_DEP_2)
	v_cndmask_b32_e64 v66, v66, 0xffffff8a, vcc_lo
	v_lshrrev_b32_e32 v73, v71, v70
	v_lshl_add_u32 v72, 0x100000, v71, -1
	v_lshlrev_b32_e64 v75, v71, 0x80000
	s_delay_alu instid0(VALU_DEP_4) | instskip(NEXT) | instid1(VALU_DEP_4)
	v_add_nc_u32_e32 v71, v71, v66
	v_bfe_u32 v74, v73, 20, 1
	s_delay_alu instid0(VALU_DEP_4) | instskip(NEXT) | instid1(VALU_DEP_2)
	v_and_b32_e32 v70, v72, v70
	v_add_nc_u32_e32 v72, -1, v74
	s_delay_alu instid0(VALU_DEP_2) | instskip(SKIP_1) | instid1(VALU_DEP_1)
	v_cmp_eq_u32_e64 s0, v70, v75
	s_wait_alu 0xf1ff
	v_cndmask_b32_e64 v70, 0, v72, s0
	v_lshrrev_b32_e32 v72, 23, v73
	s_mov_b32 s0, exec_lo
	s_delay_alu instid0(VALU_DEP_2) | instskip(NEXT) | instid1(VALU_DEP_2)
	v_add_nc_u32_e32 v70, v70, v73
	v_xor_b32_e32 v72, 1, v72
	s_delay_alu instid0(VALU_DEP_2) | instskip(NEXT) | instid1(VALU_DEP_1)
	v_and_b32_e32 v66, 0xfffff, v70
	v_add_nc_u32_e32 v70, v66, v73
                                        ; implicit-def: $vgpr66
	s_delay_alu instid0(VALU_DEP_3)
	v_cmpx_ne_u32_e64 v71, v72
	s_wait_alu 0xfffe
	s_xor_b32 s0, exec_lo, s0
; %bb.509:
	s_delay_alu instid0(VALU_DEP_2) | instskip(SKIP_3) | instid1(VALU_DEP_2)
	v_cmp_lt_u32_e32 vcc_lo, 0xffffff, v70
	v_sub_nc_u32_e32 v66, v71, v72
	s_wait_alu 0xfffd
	v_cndmask_b32_e64 v71, 0, 1, vcc_lo
	v_add_co_ci_u32_e64 v66, null, 0, v66, vcc_lo
	s_delay_alu instid0(VALU_DEP_2)
	v_lshrrev_b32_e32 v70, v71, v70
; %bb.510:
	s_wait_alu 0xfffe
	s_and_not1_saveexec_b32 s0, s0
; %bb.511:
	s_delay_alu instid0(VALU_DEP_1)
	v_bfe_u32 v66, v70, 23, 1
; %bb.512:
	s_wait_alu 0xfffe
	s_or_b32 exec_lo, exec_lo, s0
	v_lshrrev_b32_e32 v70, 20, v70
	s_delay_alu instid0(VALU_DEP_2) | instskip(SKIP_3) | instid1(VALU_DEP_2)
	v_cmp_gt_i32_e32 vcc_lo, 16, v66
	v_lshrrev_b32_e32 v67, 24, v67
	v_min_i32_e32 v71, 15, v66
	s_wait_alu 0xfffd
	v_dual_cndmask_b32 v70, 7, v70 :: v_dual_and_b32 v67, 0x80, v67
	s_delay_alu instid0(VALU_DEP_2) | instskip(NEXT) | instid1(VALU_DEP_2)
	v_lshlrev_b32_e32 v71, 3, v71
	v_and_b32_e32 v72, 7, v70
	v_or_b32_e32 v66, v66, v70
	s_delay_alu instid0(VALU_DEP_2) | instskip(NEXT) | instid1(VALU_DEP_2)
	v_or3_b32 v67, v67, v71, v72
	v_cmp_ne_u32_e32 vcc_lo, 0, v66
	s_delay_alu instid0(VALU_DEP_2) | instskip(SKIP_1) | instid1(VALU_DEP_1)
	v_lshlrev_b32_e32 v67, 24, v67
	s_wait_alu 0xfffd
	v_cndmask_b32_e32 v66, 0, v67, vcc_lo
.LBB3_513:
	s_wait_alu 0xfffe
	s_or_b32 exec_lo, exec_lo, s6
.LBB3_514:
	s_delay_alu instid0(SALU_CYCLE_1) | instskip(SKIP_3) | instid1(VALU_DEP_1)
	s_or_b32 exec_lo, exec_lo, s2
	v_or_b32_e32 v64, v64, v69
	s_mov_b32 s0, s14
	s_mov_b32 s2, s5
	v_or3_b32 v64, v65, v64, v66
	buffer_store_b32 v64, v68, s[0:3], null offen offset:4
	s_wait_dscnt 0x0
	s_barrier_signal -1
	s_barrier_wait -1
	ds_store_2addr_stride64_b32 v209, v56, v57 offset1:1
	ds_store_2addr_stride64_b32 v209, v58, v59 offset0:2 offset1:3
	ds_store_2addr_stride64_b32 v209, v60, v61 offset0:4 offset1:5
	;; [unrolled: 1-line block ×3, first 2 shown]
	s_wait_dscnt 0x0
	s_barrier_signal -1
	s_barrier_wait -1
	ds_load_b128 v[56:59], v208
	s_wait_dscnt 0x0
	v_and_b32_e32 v60, 0x7f800000, v56
	s_delay_alu instid0(VALU_DEP_1)
	v_cmp_ne_u32_e32 vcc_lo, 0x7f800000, v60
	v_mov_b32_e32 v60, 0x80
	s_and_saveexec_b32 s2, vcc_lo
	s_cbranch_execz .LBB3_522
; %bb.515:
	v_mov_b32_e32 v60, 0
	s_mov_b32 s6, exec_lo
	v_cmpx_ne_u32_e32 0, v56
	s_cbranch_execz .LBB3_521
; %bb.516:
	v_bfe_u32 v60, v56, 23, 8
	s_delay_alu instid0(VALU_DEP_1) | instskip(SKIP_2) | instid1(VALU_DEP_2)
	v_sub_nc_u32_e32 v62, 0x78, v60
	v_cmp_gt_u32_e32 vcc_lo, 0x79, v60
	s_wait_alu 0xfffd
	v_dual_cndmask_b32 v62, 0, v62 :: v_dual_and_b32 v61, 0x7fffff, v56
	s_delay_alu instid0(VALU_DEP_1) | instskip(SKIP_2) | instid1(VALU_DEP_2)
	v_or_b32_e32 v63, 0x800000, v61
	v_cmp_eq_u32_e32 vcc_lo, 0, v60
	s_wait_alu 0xfffd
	v_dual_cndmask_b32 v61, v63, v61 :: v_dual_add_nc_u32 v60, 0xffffff89, v60
	v_cndmask_b32_e64 v62, v62, 0x77, vcc_lo
	s_delay_alu instid0(VALU_DEP_2) | instskip(NEXT) | instid1(VALU_DEP_2)
	v_cndmask_b32_e64 v60, v60, 0xffffff8a, vcc_lo
	v_lshrrev_b32_e32 v64, v62, v61
	v_lshl_add_u32 v63, 0x100000, v62, -1
	v_lshlrev_b32_e64 v66, v62, 0x80000
	s_delay_alu instid0(VALU_DEP_4) | instskip(NEXT) | instid1(VALU_DEP_4)
	v_add_nc_u32_e32 v62, v62, v60
	v_bfe_u32 v65, v64, 20, 1
	s_delay_alu instid0(VALU_DEP_4) | instskip(NEXT) | instid1(VALU_DEP_2)
	v_and_b32_e32 v61, v63, v61
	v_add_nc_u32_e32 v63, -1, v65
	s_delay_alu instid0(VALU_DEP_2) | instskip(SKIP_1) | instid1(VALU_DEP_1)
	v_cmp_eq_u32_e64 s0, v61, v66
	s_wait_alu 0xf1ff
	v_cndmask_b32_e64 v61, 0, v63, s0
	v_lshrrev_b32_e32 v63, 23, v64
	s_mov_b32 s0, exec_lo
	s_delay_alu instid0(VALU_DEP_2) | instskip(NEXT) | instid1(VALU_DEP_2)
	v_add_nc_u32_e32 v61, v61, v64
	v_xor_b32_e32 v63, 1, v63
	s_delay_alu instid0(VALU_DEP_2) | instskip(NEXT) | instid1(VALU_DEP_1)
	v_and_b32_e32 v60, 0xfffff, v61
	v_add_nc_u32_e32 v61, v60, v64
                                        ; implicit-def: $vgpr60
	s_delay_alu instid0(VALU_DEP_3)
	v_cmpx_ne_u32_e64 v62, v63
	s_wait_alu 0xfffe
	s_xor_b32 s0, exec_lo, s0
; %bb.517:
	s_delay_alu instid0(VALU_DEP_2) | instskip(SKIP_3) | instid1(VALU_DEP_2)
	v_cmp_lt_u32_e32 vcc_lo, 0xffffff, v61
	v_sub_nc_u32_e32 v60, v62, v63
	s_wait_alu 0xfffd
	v_cndmask_b32_e64 v62, 0, 1, vcc_lo
	v_add_co_ci_u32_e64 v60, null, 0, v60, vcc_lo
	s_delay_alu instid0(VALU_DEP_2)
	v_lshrrev_b32_e32 v61, v62, v61
; %bb.518:
	s_wait_alu 0xfffe
	s_and_not1_saveexec_b32 s0, s0
; %bb.519:
	s_delay_alu instid0(VALU_DEP_1)
	v_bfe_u32 v60, v61, 23, 1
; %bb.520:
	s_wait_alu 0xfffe
	s_or_b32 exec_lo, exec_lo, s0
	v_lshrrev_b32_e32 v61, 20, v61
	s_delay_alu instid0(VALU_DEP_2) | instskip(SKIP_3) | instid1(VALU_DEP_2)
	v_cmp_gt_i32_e32 vcc_lo, 16, v60
	v_min_i32_e32 v62, 15, v60
	v_lshrrev_b32_e32 v56, 24, v56
	s_wait_alu 0xfffd
	v_dual_cndmask_b32 v61, 7, v61 :: v_dual_lshlrev_b32 v62, 3, v62
	s_delay_alu instid0(VALU_DEP_2) | instskip(NEXT) | instid1(VALU_DEP_2)
	v_and_b32_e32 v56, 0x80, v56
	v_or_b32_e32 v60, v60, v61
	s_delay_alu instid0(VALU_DEP_3) | instskip(NEXT) | instid1(VALU_DEP_2)
	v_and_b32_e32 v62, 0xf8, v62
	v_cmp_ne_u32_e32 vcc_lo, 0, v60
	v_and_b32_e32 v63, 7, v61
	s_delay_alu instid0(VALU_DEP_1) | instskip(SKIP_1) | instid1(VALU_DEP_1)
	v_or3_b32 v56, v62, v56, v63
	s_wait_alu 0xfffd
	v_cndmask_b32_e32 v60, 0, v56, vcc_lo
.LBB3_521:
	s_wait_alu 0xfffe
	s_or_b32 exec_lo, exec_lo, s6
.LBB3_522:
	s_delay_alu instid0(SALU_CYCLE_1) | instskip(SKIP_3) | instid1(VALU_DEP_2)
	s_or_b32 exec_lo, exec_lo, s2
	v_and_b32_e32 v56, 0x7f800000, v57
	v_mov_b32_e32 v61, 0x8000
	s_mov_b32 s2, exec_lo
	v_cmpx_ne_u32_e32 0x7f800000, v56
	s_cbranch_execz .LBB3_530
; %bb.523:
	v_mov_b32_e32 v61, 0
	s_mov_b32 s6, exec_lo
	v_cmpx_ne_u32_e32 0, v57
	s_cbranch_execz .LBB3_529
; %bb.524:
	v_bfe_u32 v56, v57, 23, 8
	s_delay_alu instid0(VALU_DEP_1) | instskip(SKIP_2) | instid1(VALU_DEP_2)
	v_sub_nc_u32_e32 v62, 0x78, v56
	v_cmp_gt_u32_e32 vcc_lo, 0x79, v56
	s_wait_alu 0xfffd
	v_dual_cndmask_b32 v62, 0, v62 :: v_dual_and_b32 v61, 0x7fffff, v57
	s_delay_alu instid0(VALU_DEP_1) | instskip(SKIP_2) | instid1(VALU_DEP_2)
	v_or_b32_e32 v63, 0x800000, v61
	v_cmp_eq_u32_e32 vcc_lo, 0, v56
	s_wait_alu 0xfffd
	v_dual_cndmask_b32 v61, v63, v61 :: v_dual_add_nc_u32 v56, 0xffffff89, v56
	v_cndmask_b32_e64 v62, v62, 0x77, vcc_lo
	s_delay_alu instid0(VALU_DEP_2) | instskip(NEXT) | instid1(VALU_DEP_2)
	v_cndmask_b32_e64 v56, v56, 0xffffff8a, vcc_lo
	v_lshrrev_b32_e32 v64, v62, v61
	v_lshl_add_u32 v63, 0x100000, v62, -1
	v_lshlrev_b32_e64 v66, v62, 0x80000
	s_delay_alu instid0(VALU_DEP_4) | instskip(NEXT) | instid1(VALU_DEP_4)
	v_add_nc_u32_e32 v62, v62, v56
	v_bfe_u32 v65, v64, 20, 1
	s_delay_alu instid0(VALU_DEP_4) | instskip(NEXT) | instid1(VALU_DEP_2)
	v_and_b32_e32 v61, v63, v61
	v_add_nc_u32_e32 v63, -1, v65
	s_delay_alu instid0(VALU_DEP_2) | instskip(SKIP_1) | instid1(VALU_DEP_1)
	v_cmp_eq_u32_e64 s0, v61, v66
	s_wait_alu 0xf1ff
	v_cndmask_b32_e64 v61, 0, v63, s0
	v_lshrrev_b32_e32 v63, 23, v64
	s_mov_b32 s0, exec_lo
	s_delay_alu instid0(VALU_DEP_2) | instskip(NEXT) | instid1(VALU_DEP_2)
	v_add_nc_u32_e32 v61, v61, v64
	v_xor_b32_e32 v63, 1, v63
	s_delay_alu instid0(VALU_DEP_2) | instskip(NEXT) | instid1(VALU_DEP_1)
	v_and_b32_e32 v56, 0xfffff, v61
	v_add_nc_u32_e32 v61, v56, v64
                                        ; implicit-def: $vgpr56
	s_delay_alu instid0(VALU_DEP_3)
	v_cmpx_ne_u32_e64 v62, v63
	s_wait_alu 0xfffe
	s_xor_b32 s0, exec_lo, s0
; %bb.525:
	s_delay_alu instid0(VALU_DEP_2) | instskip(SKIP_3) | instid1(VALU_DEP_2)
	v_cmp_lt_u32_e32 vcc_lo, 0xffffff, v61
	v_sub_nc_u32_e32 v56, v62, v63
	s_wait_alu 0xfffd
	v_cndmask_b32_e64 v62, 0, 1, vcc_lo
	v_add_co_ci_u32_e64 v56, null, 0, v56, vcc_lo
	s_delay_alu instid0(VALU_DEP_2)
	v_lshrrev_b32_e32 v61, v62, v61
; %bb.526:
	s_wait_alu 0xfffe
	s_and_not1_saveexec_b32 s0, s0
; %bb.527:
	s_delay_alu instid0(VALU_DEP_1)
	v_bfe_u32 v56, v61, 23, 1
; %bb.528:
	s_wait_alu 0xfffe
	s_or_b32 exec_lo, exec_lo, s0
	v_lshrrev_b32_e32 v61, 20, v61
	s_delay_alu instid0(VALU_DEP_2) | instskip(SKIP_3) | instid1(VALU_DEP_2)
	v_cmp_gt_i32_e32 vcc_lo, 16, v56
	v_min_i32_e32 v62, 15, v56
	v_lshrrev_b32_e32 v57, 24, v57
	s_wait_alu 0xfffd
	v_dual_cndmask_b32 v61, 7, v61 :: v_dual_lshlrev_b32 v62, 3, v62
	s_delay_alu instid0(VALU_DEP_2) | instskip(NEXT) | instid1(VALU_DEP_2)
	v_and_b32_e32 v57, 0x80, v57
	v_or_b32_e32 v56, v56, v61
	v_and_b32_e32 v63, 7, v61
	s_delay_alu instid0(VALU_DEP_2) | instskip(SKIP_1) | instid1(VALU_DEP_1)
	v_cmp_ne_u32_e32 vcc_lo, 0, v56
	v_and_b32_e32 v62, 0xf8, v62
	v_or3_b32 v57, v57, v62, v63
	s_delay_alu instid0(VALU_DEP_1) | instskip(SKIP_1) | instid1(VALU_DEP_1)
	v_lshlrev_b32_e32 v57, 8, v57
	s_wait_alu 0xfffd
	v_cndmask_b32_e32 v61, 0, v57, vcc_lo
.LBB3_529:
	s_wait_alu 0xfffe
	s_or_b32 exec_lo, exec_lo, s6
.LBB3_530:
	s_delay_alu instid0(SALU_CYCLE_1) | instskip(SKIP_3) | instid1(VALU_DEP_2)
	s_or_b32 exec_lo, exec_lo, s2
	v_and_b32_e32 v56, 0x7f800000, v58
	v_mov_b32_e32 v62, 0x800000
	s_mov_b32 s2, exec_lo
	v_cmpx_ne_u32_e32 0x7f800000, v56
	s_cbranch_execz .LBB3_538
; %bb.531:
	v_mov_b32_e32 v62, 0
	s_mov_b32 s6, exec_lo
	v_cmpx_ne_u32_e32 0, v58
	s_cbranch_execz .LBB3_537
; %bb.532:
	v_bfe_u32 v56, v58, 23, 8
	v_and_b32_e32 v57, 0x7fffff, v58
	s_delay_alu instid0(VALU_DEP_2) | instskip(SKIP_1) | instid1(VALU_DEP_3)
	v_sub_nc_u32_e32 v62, 0x78, v56
	v_cmp_gt_u32_e32 vcc_lo, 0x79, v56
	v_or_b32_e32 v63, 0x800000, v57
	s_wait_alu 0xfffd
	s_delay_alu instid0(VALU_DEP_3) | instskip(SKIP_3) | instid1(VALU_DEP_3)
	v_cndmask_b32_e32 v62, 0, v62, vcc_lo
	v_cmp_eq_u32_e32 vcc_lo, 0, v56
	s_wait_alu 0xfffd
	v_dual_cndmask_b32 v57, v63, v57 :: v_dual_add_nc_u32 v56, 0xffffff89, v56
	v_cndmask_b32_e64 v62, v62, 0x77, vcc_lo
	s_delay_alu instid0(VALU_DEP_2) | instskip(NEXT) | instid1(VALU_DEP_2)
	v_cndmask_b32_e64 v56, v56, 0xffffff8a, vcc_lo
	v_lshrrev_b32_e32 v64, v62, v57
	v_lshl_add_u32 v63, 0x100000, v62, -1
	v_lshlrev_b32_e64 v66, v62, 0x80000
	s_delay_alu instid0(VALU_DEP_4) | instskip(NEXT) | instid1(VALU_DEP_4)
	v_add_nc_u32_e32 v62, v62, v56
	v_bfe_u32 v65, v64, 20, 1
	s_delay_alu instid0(VALU_DEP_4) | instskip(NEXT) | instid1(VALU_DEP_2)
	v_and_b32_e32 v57, v63, v57
	v_add_nc_u32_e32 v63, -1, v65
	s_delay_alu instid0(VALU_DEP_2) | instskip(SKIP_1) | instid1(VALU_DEP_1)
	v_cmp_eq_u32_e64 s0, v57, v66
	s_wait_alu 0xf1ff
	v_cndmask_b32_e64 v57, 0, v63, s0
	v_lshrrev_b32_e32 v63, 23, v64
	s_mov_b32 s0, exec_lo
	s_delay_alu instid0(VALU_DEP_2) | instskip(NEXT) | instid1(VALU_DEP_2)
	v_add_nc_u32_e32 v57, v57, v64
	v_xor_b32_e32 v63, 1, v63
	s_delay_alu instid0(VALU_DEP_2) | instskip(NEXT) | instid1(VALU_DEP_1)
	v_and_b32_e32 v56, 0xfffff, v57
	v_add_nc_u32_e32 v57, v56, v64
                                        ; implicit-def: $vgpr56
	s_delay_alu instid0(VALU_DEP_3)
	v_cmpx_ne_u32_e64 v62, v63
	s_wait_alu 0xfffe
	s_xor_b32 s0, exec_lo, s0
; %bb.533:
	s_delay_alu instid0(VALU_DEP_2) | instskip(SKIP_3) | instid1(VALU_DEP_2)
	v_cmp_lt_u32_e32 vcc_lo, 0xffffff, v57
	v_sub_nc_u32_e32 v56, v62, v63
	s_wait_alu 0xfffd
	v_cndmask_b32_e64 v62, 0, 1, vcc_lo
	v_add_co_ci_u32_e64 v56, null, 0, v56, vcc_lo
	s_delay_alu instid0(VALU_DEP_2)
	v_lshrrev_b32_e32 v57, v62, v57
; %bb.534:
	s_wait_alu 0xfffe
	s_and_not1_saveexec_b32 s0, s0
; %bb.535:
	s_delay_alu instid0(VALU_DEP_1)
	v_bfe_u32 v56, v57, 23, 1
; %bb.536:
	s_wait_alu 0xfffe
	s_or_b32 exec_lo, exec_lo, s0
	v_lshrrev_b32_e32 v57, 20, v57
	s_delay_alu instid0(VALU_DEP_2) | instskip(SKIP_3) | instid1(VALU_DEP_3)
	v_min_i32_e32 v62, 15, v56
	v_cmp_gt_i32_e32 vcc_lo, 16, v56
	v_lshrrev_b32_e32 v58, 24, v58
	s_wait_alu 0xfffd
	v_dual_cndmask_b32 v57, 7, v57 :: v_dual_lshlrev_b32 v62, 3, v62
	s_delay_alu instid0(VALU_DEP_2) | instskip(NEXT) | instid1(VALU_DEP_2)
	v_and_b32_e32 v58, 0x80, v58
	v_and_b32_e32 v62, 0xf8, v62
	s_delay_alu instid0(VALU_DEP_3) | instskip(SKIP_1) | instid1(VALU_DEP_2)
	v_and_b32_e32 v63, 7, v57
	v_or_b32_e32 v56, v56, v57
	v_or3_b32 v58, v58, v62, v63
	s_delay_alu instid0(VALU_DEP_2) | instskip(NEXT) | instid1(VALU_DEP_2)
	v_cmp_ne_u32_e32 vcc_lo, 0, v56
	v_lshlrev_b32_e32 v57, 16, v58
	s_wait_alu 0xfffd
	s_delay_alu instid0(VALU_DEP_1)
	v_cndmask_b32_e32 v62, 0, v57, vcc_lo
.LBB3_537:
	s_wait_alu 0xfffe
	s_or_b32 exec_lo, exec_lo, s6
.LBB3_538:
	s_delay_alu instid0(SALU_CYCLE_1) | instskip(SKIP_3) | instid1(VALU_DEP_2)
	s_or_b32 exec_lo, exec_lo, s2
	v_and_b32_e32 v56, 0x7f800000, v59
	v_bfrev_b32_e32 v63, 1
	s_mov_b32 s2, exec_lo
	v_cmpx_ne_u32_e32 0x7f800000, v56
	s_cbranch_execz .LBB3_546
; %bb.539:
	v_mov_b32_e32 v63, 0
	s_mov_b32 s6, exec_lo
	v_cmpx_ne_u32_e32 0, v59
	s_cbranch_execz .LBB3_545
; %bb.540:
	v_bfe_u32 v56, v59, 23, 8
	s_delay_alu instid0(VALU_DEP_1) | instskip(SKIP_2) | instid1(VALU_DEP_2)
	v_sub_nc_u32_e32 v58, 0x78, v56
	v_cmp_gt_u32_e32 vcc_lo, 0x79, v56
	s_wait_alu 0xfffd
	v_dual_cndmask_b32 v58, 0, v58 :: v_dual_and_b32 v57, 0x7fffff, v59
	s_delay_alu instid0(VALU_DEP_1) | instskip(SKIP_2) | instid1(VALU_DEP_2)
	v_or_b32_e32 v63, 0x800000, v57
	v_cmp_eq_u32_e32 vcc_lo, 0, v56
	s_wait_alu 0xfffd
	v_dual_cndmask_b32 v57, v63, v57 :: v_dual_add_nc_u32 v56, 0xffffff89, v56
	v_cndmask_b32_e64 v58, v58, 0x77, vcc_lo
	s_delay_alu instid0(VALU_DEP_2) | instskip(NEXT) | instid1(VALU_DEP_2)
	v_cndmask_b32_e64 v56, v56, 0xffffff8a, vcc_lo
	v_lshrrev_b32_e32 v64, v58, v57
	v_lshl_add_u32 v63, 0x100000, v58, -1
	v_lshlrev_b32_e64 v66, v58, 0x80000
	s_delay_alu instid0(VALU_DEP_4) | instskip(NEXT) | instid1(VALU_DEP_4)
	v_add_nc_u32_e32 v58, v58, v56
	v_bfe_u32 v65, v64, 20, 1
	s_delay_alu instid0(VALU_DEP_4) | instskip(NEXT) | instid1(VALU_DEP_2)
	v_and_b32_e32 v57, v63, v57
	v_add_nc_u32_e32 v63, -1, v65
	s_delay_alu instid0(VALU_DEP_2) | instskip(SKIP_1) | instid1(VALU_DEP_1)
	v_cmp_eq_u32_e64 s0, v57, v66
	s_wait_alu 0xf1ff
	v_cndmask_b32_e64 v57, 0, v63, s0
	v_lshrrev_b32_e32 v63, 23, v64
	s_mov_b32 s0, exec_lo
	s_delay_alu instid0(VALU_DEP_2) | instskip(NEXT) | instid1(VALU_DEP_2)
	v_add_nc_u32_e32 v57, v57, v64
	v_xor_b32_e32 v63, 1, v63
	s_delay_alu instid0(VALU_DEP_2) | instskip(NEXT) | instid1(VALU_DEP_1)
	v_and_b32_e32 v56, 0xfffff, v57
	v_add_nc_u32_e32 v57, v56, v64
                                        ; implicit-def: $vgpr56
	s_delay_alu instid0(VALU_DEP_3)
	v_cmpx_ne_u32_e64 v58, v63
	s_wait_alu 0xfffe
	s_xor_b32 s0, exec_lo, s0
; %bb.541:
	s_delay_alu instid0(VALU_DEP_2) | instskip(SKIP_3) | instid1(VALU_DEP_2)
	v_cmp_lt_u32_e32 vcc_lo, 0xffffff, v57
	v_sub_nc_u32_e32 v56, v58, v63
	s_wait_alu 0xfffd
	v_cndmask_b32_e64 v58, 0, 1, vcc_lo
	v_add_co_ci_u32_e64 v56, null, 0, v56, vcc_lo
	s_delay_alu instid0(VALU_DEP_2)
	v_lshrrev_b32_e32 v57, v58, v57
; %bb.542:
	s_wait_alu 0xfffe
	s_and_not1_saveexec_b32 s0, s0
; %bb.543:
	s_delay_alu instid0(VALU_DEP_1)
	v_bfe_u32 v56, v57, 23, 1
; %bb.544:
	s_wait_alu 0xfffe
	s_or_b32 exec_lo, exec_lo, s0
	v_lshrrev_b32_e32 v57, 20, v57
	s_delay_alu instid0(VALU_DEP_2) | instskip(SKIP_3) | instid1(VALU_DEP_2)
	v_cmp_gt_i32_e32 vcc_lo, 16, v56
	v_lshrrev_b32_e32 v58, 24, v59
	v_min_i32_e32 v59, 15, v56
	s_wait_alu 0xfffd
	v_dual_cndmask_b32 v57, 7, v57 :: v_dual_and_b32 v58, 0x80, v58
	s_delay_alu instid0(VALU_DEP_2) | instskip(NEXT) | instid1(VALU_DEP_2)
	v_lshlrev_b32_e32 v59, 3, v59
	v_and_b32_e32 v63, 7, v57
	v_or_b32_e32 v56, v56, v57
	s_delay_alu instid0(VALU_DEP_2) | instskip(NEXT) | instid1(VALU_DEP_2)
	v_or3_b32 v58, v58, v59, v63
	v_cmp_ne_u32_e32 vcc_lo, 0, v56
	s_delay_alu instid0(VALU_DEP_2) | instskip(SKIP_1) | instid1(VALU_DEP_1)
	v_lshlrev_b32_e32 v57, 24, v58
	s_wait_alu 0xfffd
	v_cndmask_b32_e32 v63, 0, v57, vcc_lo
.LBB3_545:
	s_wait_alu 0xfffe
	s_or_b32 exec_lo, exec_lo, s6
.LBB3_546:
	s_delay_alu instid0(SALU_CYCLE_1)
	s_or_b32 exec_lo, exec_lo, s2
	ds_load_b128 v[56:59], v208 offset:16
	v_or_b32_e32 v61, v61, v60
	v_add_nc_u32_e32 v60, s4, v68
	v_wmma_f32_16x16x16_fp8_fp8 v[48:55], v[172:173], v[148:149], v[48:55]
	s_mov_b32 s0, s14
	s_mov_b32 s2, s5
	v_or3_b32 v62, v62, v61, v63
	v_mov_b32_e32 v61, 0x80
	buffer_store_b32 v62, v60, s[0:3], null offen
	s_mov_b32 s2, exec_lo
	s_wait_dscnt 0x0
	v_and_b32_e32 v64, 0x7f800000, v56
	s_delay_alu instid0(VALU_DEP_1)
	v_cmpx_ne_u32_e32 0x7f800000, v64
	s_cbranch_execz .LBB3_554
; %bb.547:
	v_mov_b32_e32 v61, 0
	s_mov_b32 s6, exec_lo
	v_cmpx_ne_u32_e32 0, v56
	s_cbranch_execz .LBB3_553
; %bb.548:
	v_bfe_u32 v61, v56, 23, 8
	s_delay_alu instid0(VALU_DEP_1) | instskip(SKIP_2) | instid1(VALU_DEP_2)
	v_sub_nc_u32_e32 v63, 0x78, v61
	v_cmp_gt_u32_e32 vcc_lo, 0x79, v61
	s_wait_alu 0xfffd
	v_dual_cndmask_b32 v63, 0, v63 :: v_dual_and_b32 v62, 0x7fffff, v56
	s_delay_alu instid0(VALU_DEP_1) | instskip(SKIP_2) | instid1(VALU_DEP_2)
	v_or_b32_e32 v64, 0x800000, v62
	v_cmp_eq_u32_e32 vcc_lo, 0, v61
	s_wait_alu 0xfffd
	v_dual_cndmask_b32 v62, v64, v62 :: v_dual_add_nc_u32 v61, 0xffffff89, v61
	v_cndmask_b32_e64 v63, v63, 0x77, vcc_lo
	s_delay_alu instid0(VALU_DEP_2) | instskip(NEXT) | instid1(VALU_DEP_2)
	v_cndmask_b32_e64 v61, v61, 0xffffff8a, vcc_lo
	v_lshrrev_b32_e32 v65, v63, v62
	v_lshl_add_u32 v64, 0x100000, v63, -1
	v_lshlrev_b32_e64 v67, v63, 0x80000
	s_delay_alu instid0(VALU_DEP_4) | instskip(NEXT) | instid1(VALU_DEP_4)
	v_add_nc_u32_e32 v63, v63, v61
	v_bfe_u32 v66, v65, 20, 1
	s_delay_alu instid0(VALU_DEP_4) | instskip(NEXT) | instid1(VALU_DEP_2)
	v_and_b32_e32 v62, v64, v62
	v_add_nc_u32_e32 v64, -1, v66
	s_delay_alu instid0(VALU_DEP_2) | instskip(SKIP_1) | instid1(VALU_DEP_1)
	v_cmp_eq_u32_e64 s0, v62, v67
	s_wait_alu 0xf1ff
	v_cndmask_b32_e64 v62, 0, v64, s0
	v_lshrrev_b32_e32 v64, 23, v65
	s_mov_b32 s0, exec_lo
	s_delay_alu instid0(VALU_DEP_2) | instskip(NEXT) | instid1(VALU_DEP_2)
	v_add_nc_u32_e32 v62, v62, v65
	v_xor_b32_e32 v64, 1, v64
	s_delay_alu instid0(VALU_DEP_2) | instskip(NEXT) | instid1(VALU_DEP_1)
	v_and_b32_e32 v61, 0xfffff, v62
	v_add_nc_u32_e32 v62, v61, v65
                                        ; implicit-def: $vgpr61
	s_delay_alu instid0(VALU_DEP_3)
	v_cmpx_ne_u32_e64 v63, v64
	s_wait_alu 0xfffe
	s_xor_b32 s0, exec_lo, s0
; %bb.549:
	s_delay_alu instid0(VALU_DEP_2) | instskip(SKIP_3) | instid1(VALU_DEP_2)
	v_cmp_lt_u32_e32 vcc_lo, 0xffffff, v62
	v_sub_nc_u32_e32 v61, v63, v64
	s_wait_alu 0xfffd
	v_cndmask_b32_e64 v63, 0, 1, vcc_lo
	v_add_co_ci_u32_e64 v61, null, 0, v61, vcc_lo
	s_delay_alu instid0(VALU_DEP_2)
	v_lshrrev_b32_e32 v62, v63, v62
; %bb.550:
	s_wait_alu 0xfffe
	s_and_not1_saveexec_b32 s0, s0
; %bb.551:
	s_delay_alu instid0(VALU_DEP_1)
	v_bfe_u32 v61, v62, 23, 1
; %bb.552:
	s_wait_alu 0xfffe
	s_or_b32 exec_lo, exec_lo, s0
	v_lshrrev_b32_e32 v62, 20, v62
	s_delay_alu instid0(VALU_DEP_2) | instskip(SKIP_3) | instid1(VALU_DEP_2)
	v_cmp_gt_i32_e32 vcc_lo, 16, v61
	v_min_i32_e32 v63, 15, v61
	v_lshrrev_b32_e32 v56, 24, v56
	s_wait_alu 0xfffd
	v_dual_cndmask_b32 v62, 7, v62 :: v_dual_lshlrev_b32 v63, 3, v63
	s_delay_alu instid0(VALU_DEP_2) | instskip(NEXT) | instid1(VALU_DEP_2)
	v_and_b32_e32 v56, 0x80, v56
	v_or_b32_e32 v61, v61, v62
	s_delay_alu instid0(VALU_DEP_3) | instskip(NEXT) | instid1(VALU_DEP_2)
	v_and_b32_e32 v63, 0xf8, v63
	v_cmp_ne_u32_e32 vcc_lo, 0, v61
	v_and_b32_e32 v64, 7, v62
	s_delay_alu instid0(VALU_DEP_1) | instskip(SKIP_1) | instid1(VALU_DEP_1)
	v_or3_b32 v56, v63, v56, v64
	s_wait_alu 0xfffd
	v_cndmask_b32_e32 v61, 0, v56, vcc_lo
.LBB3_553:
	s_wait_alu 0xfffe
	s_or_b32 exec_lo, exec_lo, s6
.LBB3_554:
	s_delay_alu instid0(SALU_CYCLE_1) | instskip(SKIP_2) | instid1(VALU_DEP_2)
	s_or_b32 exec_lo, exec_lo, s2
	v_and_b32_e32 v56, 0x7f800000, v57
	v_wmma_f32_16x16x16_fp8_fp8 v[48:55], v[174:175], v[150:151], v[48:55]
	v_cmp_ne_u32_e32 vcc_lo, 0x7f800000, v56
	v_mov_b32_e32 v56, 0x8000
	s_and_saveexec_b32 s2, vcc_lo
	s_cbranch_execz .LBB3_562
; %bb.555:
	v_mov_b32_e32 v56, 0
	s_mov_b32 s6, exec_lo
	v_cmpx_ne_u32_e32 0, v57
	s_cbranch_execz .LBB3_561
; %bb.556:
	v_bfe_u32 v56, v57, 23, 8
	s_delay_alu instid0(VALU_DEP_1) | instskip(SKIP_2) | instid1(VALU_DEP_2)
	v_sub_nc_u32_e32 v63, 0x78, v56
	v_cmp_gt_u32_e32 vcc_lo, 0x79, v56
	s_wait_alu 0xfffd
	v_dual_cndmask_b32 v63, 0, v63 :: v_dual_and_b32 v62, 0x7fffff, v57
	s_delay_alu instid0(VALU_DEP_1) | instskip(SKIP_4) | instid1(VALU_DEP_2)
	v_or_b32_e32 v64, 0x800000, v62
	v_cmp_eq_u32_e32 vcc_lo, 0, v56
	v_add_nc_u32_e32 v56, 0xffffff89, v56
	s_wait_alu 0xfffd
	v_cndmask_b32_e64 v63, v63, 0x77, vcc_lo
	v_cndmask_b32_e64 v56, v56, 0xffffff8a, vcc_lo
	v_cndmask_b32_e32 v62, v64, v62, vcc_lo
	s_delay_alu instid0(VALU_DEP_3) | instskip(SKIP_1) | instid1(VALU_DEP_3)
	v_lshl_add_u32 v64, 0x100000, v63, -1
	v_lshlrev_b32_e64 v67, v63, 0x80000
	v_lshrrev_b32_e32 v65, v63, v62
	v_add_nc_u32_e32 v63, v63, v56
	s_delay_alu instid0(VALU_DEP_4) | instskip(NEXT) | instid1(VALU_DEP_3)
	v_and_b32_e32 v62, v64, v62
	v_bfe_u32 v66, v65, 20, 1
	s_delay_alu instid0(VALU_DEP_2) | instskip(NEXT) | instid1(VALU_DEP_2)
	v_cmp_eq_u32_e64 s0, v62, v67
	v_add_nc_u32_e32 v64, -1, v66
	s_wait_alu 0xf1ff
	s_delay_alu instid0(VALU_DEP_1) | instskip(SKIP_2) | instid1(VALU_DEP_2)
	v_cndmask_b32_e64 v62, 0, v64, s0
	v_lshrrev_b32_e32 v64, 23, v65
	s_mov_b32 s0, exec_lo
	v_add_nc_u32_e32 v62, v62, v65
	s_delay_alu instid0(VALU_DEP_2) | instskip(NEXT) | instid1(VALU_DEP_2)
	v_xor_b32_e32 v64, 1, v64
	v_and_b32_e32 v56, 0xfffff, v62
	s_delay_alu instid0(VALU_DEP_1) | instskip(NEXT) | instid1(VALU_DEP_3)
	v_add_nc_u32_e32 v62, v56, v65
                                        ; implicit-def: $vgpr56
	v_cmpx_ne_u32_e64 v63, v64
	s_wait_alu 0xfffe
	s_xor_b32 s0, exec_lo, s0
; %bb.557:
	s_delay_alu instid0(VALU_DEP_2) | instskip(SKIP_3) | instid1(VALU_DEP_2)
	v_cmp_lt_u32_e32 vcc_lo, 0xffffff, v62
	v_sub_nc_u32_e32 v56, v63, v64
	s_wait_alu 0xfffd
	v_cndmask_b32_e64 v63, 0, 1, vcc_lo
	v_add_co_ci_u32_e64 v56, null, 0, v56, vcc_lo
	s_delay_alu instid0(VALU_DEP_2)
	v_lshrrev_b32_e32 v62, v63, v62
; %bb.558:
	s_wait_alu 0xfffe
	s_and_not1_saveexec_b32 s0, s0
; %bb.559:
	s_delay_alu instid0(VALU_DEP_1)
	v_bfe_u32 v56, v62, 23, 1
; %bb.560:
	s_wait_alu 0xfffe
	s_or_b32 exec_lo, exec_lo, s0
	v_lshrrev_b32_e32 v62, 20, v62
	s_delay_alu instid0(VALU_DEP_2) | instskip(SKIP_3) | instid1(VALU_DEP_2)
	v_cmp_gt_i32_e32 vcc_lo, 16, v56
	v_min_i32_e32 v63, 15, v56
	v_lshrrev_b32_e32 v57, 24, v57
	s_wait_alu 0xfffd
	v_dual_cndmask_b32 v62, 7, v62 :: v_dual_lshlrev_b32 v63, 3, v63
	s_delay_alu instid0(VALU_DEP_2) | instskip(NEXT) | instid1(VALU_DEP_2)
	v_and_b32_e32 v57, 0x80, v57
	v_or_b32_e32 v56, v56, v62
	v_and_b32_e32 v64, 7, v62
	s_delay_alu instid0(VALU_DEP_2) | instskip(SKIP_1) | instid1(VALU_DEP_1)
	v_cmp_ne_u32_e32 vcc_lo, 0, v56
	v_and_b32_e32 v63, 0xf8, v63
	v_or3_b32 v57, v57, v63, v64
	s_delay_alu instid0(VALU_DEP_1) | instskip(SKIP_1) | instid1(VALU_DEP_1)
	v_lshlrev_b32_e32 v57, 8, v57
	s_wait_alu 0xfffd
	v_cndmask_b32_e32 v56, 0, v57, vcc_lo
.LBB3_561:
	s_wait_alu 0xfffe
	s_or_b32 exec_lo, exec_lo, s6
.LBB3_562:
	s_delay_alu instid0(SALU_CYCLE_1) | instskip(SKIP_2) | instid1(VALU_DEP_2)
	s_or_b32 exec_lo, exec_lo, s2
	v_and_b32_e32 v57, 0x7f800000, v58
	v_wmma_f32_16x16x16_fp8_fp8 v[48:55], v[168:169], v[144:145], v[48:55]
	v_cmp_ne_u32_e32 vcc_lo, 0x7f800000, v57
	v_mov_b32_e32 v57, 0x800000
	s_and_saveexec_b32 s2, vcc_lo
	s_cbranch_execz .LBB3_570
; %bb.563:
	v_mov_b32_e32 v57, 0
	s_mov_b32 s6, exec_lo
	v_cmpx_ne_u32_e32 0, v58
	s_cbranch_execz .LBB3_569
; %bb.564:
	v_bfe_u32 v57, v58, 23, 8
	s_delay_alu instid0(VALU_DEP_1) | instskip(SKIP_2) | instid1(VALU_DEP_2)
	v_sub_nc_u32_e32 v63, 0x78, v57
	v_cmp_gt_u32_e32 vcc_lo, 0x79, v57
	s_wait_alu 0xfffd
	v_dual_cndmask_b32 v63, 0, v63 :: v_dual_and_b32 v62, 0x7fffff, v58
	s_delay_alu instid0(VALU_DEP_1) | instskip(SKIP_2) | instid1(VALU_DEP_2)
	v_or_b32_e32 v64, 0x800000, v62
	v_cmp_eq_u32_e32 vcc_lo, 0, v57
	s_wait_alu 0xfffd
	v_dual_cndmask_b32 v62, v64, v62 :: v_dual_add_nc_u32 v57, 0xffffff89, v57
	v_cndmask_b32_e64 v63, v63, 0x77, vcc_lo
	s_delay_alu instid0(VALU_DEP_2) | instskip(NEXT) | instid1(VALU_DEP_2)
	v_cndmask_b32_e64 v57, v57, 0xffffff8a, vcc_lo
	v_lshrrev_b32_e32 v65, v63, v62
	v_lshl_add_u32 v64, 0x100000, v63, -1
	v_lshlrev_b32_e64 v67, v63, 0x80000
	s_delay_alu instid0(VALU_DEP_4) | instskip(NEXT) | instid1(VALU_DEP_4)
	v_add_nc_u32_e32 v63, v63, v57
	v_bfe_u32 v66, v65, 20, 1
	s_delay_alu instid0(VALU_DEP_4) | instskip(NEXT) | instid1(VALU_DEP_2)
	v_and_b32_e32 v62, v64, v62
	v_add_nc_u32_e32 v64, -1, v66
	s_delay_alu instid0(VALU_DEP_2) | instskip(SKIP_1) | instid1(VALU_DEP_1)
	v_cmp_eq_u32_e64 s0, v62, v67
	s_wait_alu 0xf1ff
	v_cndmask_b32_e64 v62, 0, v64, s0
	v_lshrrev_b32_e32 v64, 23, v65
	s_mov_b32 s0, exec_lo
	s_delay_alu instid0(VALU_DEP_2) | instskip(NEXT) | instid1(VALU_DEP_2)
	v_add_nc_u32_e32 v62, v62, v65
	v_xor_b32_e32 v64, 1, v64
	s_delay_alu instid0(VALU_DEP_2) | instskip(NEXT) | instid1(VALU_DEP_1)
	v_and_b32_e32 v57, 0xfffff, v62
	v_add_nc_u32_e32 v62, v57, v65
                                        ; implicit-def: $vgpr57
	s_delay_alu instid0(VALU_DEP_3)
	v_cmpx_ne_u32_e64 v63, v64
	s_wait_alu 0xfffe
	s_xor_b32 s0, exec_lo, s0
; %bb.565:
	s_delay_alu instid0(VALU_DEP_2) | instskip(SKIP_3) | instid1(VALU_DEP_2)
	v_cmp_lt_u32_e32 vcc_lo, 0xffffff, v62
	v_sub_nc_u32_e32 v57, v63, v64
	s_wait_alu 0xfffd
	v_cndmask_b32_e64 v63, 0, 1, vcc_lo
	v_add_co_ci_u32_e64 v57, null, 0, v57, vcc_lo
	s_delay_alu instid0(VALU_DEP_2)
	v_lshrrev_b32_e32 v62, v63, v62
; %bb.566:
	s_wait_alu 0xfffe
	s_and_not1_saveexec_b32 s0, s0
; %bb.567:
	s_delay_alu instid0(VALU_DEP_1)
	v_bfe_u32 v57, v62, 23, 1
; %bb.568:
	s_wait_alu 0xfffe
	s_or_b32 exec_lo, exec_lo, s0
	v_lshrrev_b32_e32 v62, 20, v62
	s_delay_alu instid0(VALU_DEP_2) | instskip(SKIP_3) | instid1(VALU_DEP_3)
	v_min_i32_e32 v63, 15, v57
	v_cmp_gt_i32_e32 vcc_lo, 16, v57
	v_lshrrev_b32_e32 v58, 24, v58
	s_wait_alu 0xfffd
	v_dual_cndmask_b32 v62, 7, v62 :: v_dual_lshlrev_b32 v63, 3, v63
	s_delay_alu instid0(VALU_DEP_2) | instskip(NEXT) | instid1(VALU_DEP_2)
	v_and_b32_e32 v58, 0x80, v58
	v_and_b32_e32 v63, 0xf8, v63
	s_delay_alu instid0(VALU_DEP_3) | instskip(SKIP_1) | instid1(VALU_DEP_2)
	v_and_b32_e32 v64, 7, v62
	v_or_b32_e32 v57, v57, v62
	v_or3_b32 v58, v58, v63, v64
	s_delay_alu instid0(VALU_DEP_2) | instskip(NEXT) | instid1(VALU_DEP_2)
	v_cmp_ne_u32_e32 vcc_lo, 0, v57
	v_lshlrev_b32_e32 v58, 16, v58
	s_wait_alu 0xfffd
	s_delay_alu instid0(VALU_DEP_1)
	v_cndmask_b32_e32 v57, 0, v58, vcc_lo
.LBB3_569:
	s_wait_alu 0xfffe
	s_or_b32 exec_lo, exec_lo, s6
.LBB3_570:
	s_delay_alu instid0(SALU_CYCLE_1) | instskip(SKIP_2) | instid1(VALU_DEP_2)
	s_or_b32 exec_lo, exec_lo, s2
	v_and_b32_e32 v58, 0x7f800000, v59
	v_wmma_f32_16x16x16_fp8_fp8 v[48:55], v[170:171], v[146:147], v[48:55]
	v_cmp_ne_u32_e32 vcc_lo, 0x7f800000, v58
	v_bfrev_b32_e32 v58, 1
	s_and_saveexec_b32 s2, vcc_lo
	s_cbranch_execz .LBB3_578
; %bb.571:
	v_mov_b32_e32 v58, 0
	s_mov_b32 s6, exec_lo
	v_cmpx_ne_u32_e32 0, v59
	s_cbranch_execz .LBB3_577
; %bb.572:
	v_bfe_u32 v58, v59, 23, 8
	v_and_b32_e32 v62, 0x7fffff, v59
	s_delay_alu instid0(VALU_DEP_2) | instskip(SKIP_1) | instid1(VALU_DEP_3)
	v_sub_nc_u32_e32 v63, 0x78, v58
	v_cmp_gt_u32_e32 vcc_lo, 0x79, v58
	v_or_b32_e32 v64, 0x800000, v62
	s_wait_alu 0xfffd
	s_delay_alu instid0(VALU_DEP_3)
	v_cndmask_b32_e32 v63, 0, v63, vcc_lo
	v_cmp_eq_u32_e32 vcc_lo, 0, v58
	v_add_nc_u32_e32 v58, 0xffffff89, v58
	s_wait_alu 0xfffd
	v_cndmask_b32_e32 v62, v64, v62, vcc_lo
	v_cndmask_b32_e64 v63, v63, 0x77, vcc_lo
	s_delay_alu instid0(VALU_DEP_3) | instskip(NEXT) | instid1(VALU_DEP_2)
	v_cndmask_b32_e64 v58, v58, 0xffffff8a, vcc_lo
	v_lshrrev_b32_e32 v65, v63, v62
	v_lshl_add_u32 v64, 0x100000, v63, -1
	v_lshlrev_b32_e64 v67, v63, 0x80000
	s_delay_alu instid0(VALU_DEP_4) | instskip(NEXT) | instid1(VALU_DEP_4)
	v_add_nc_u32_e32 v63, v63, v58
	v_bfe_u32 v66, v65, 20, 1
	s_delay_alu instid0(VALU_DEP_4) | instskip(NEXT) | instid1(VALU_DEP_2)
	v_and_b32_e32 v62, v64, v62
	v_add_nc_u32_e32 v64, -1, v66
	s_delay_alu instid0(VALU_DEP_2) | instskip(SKIP_1) | instid1(VALU_DEP_1)
	v_cmp_eq_u32_e64 s0, v62, v67
	s_wait_alu 0xf1ff
	v_cndmask_b32_e64 v62, 0, v64, s0
	v_lshrrev_b32_e32 v64, 23, v65
	s_mov_b32 s0, exec_lo
	s_delay_alu instid0(VALU_DEP_2) | instskip(NEXT) | instid1(VALU_DEP_2)
	v_add_nc_u32_e32 v62, v62, v65
	v_xor_b32_e32 v64, 1, v64
	s_delay_alu instid0(VALU_DEP_2) | instskip(NEXT) | instid1(VALU_DEP_1)
	v_and_b32_e32 v58, 0xfffff, v62
	v_add_nc_u32_e32 v62, v58, v65
                                        ; implicit-def: $vgpr58
	s_delay_alu instid0(VALU_DEP_3)
	v_cmpx_ne_u32_e64 v63, v64
	s_wait_alu 0xfffe
	s_xor_b32 s0, exec_lo, s0
; %bb.573:
	s_delay_alu instid0(VALU_DEP_2) | instskip(SKIP_3) | instid1(VALU_DEP_2)
	v_cmp_lt_u32_e32 vcc_lo, 0xffffff, v62
	v_sub_nc_u32_e32 v58, v63, v64
	s_wait_alu 0xfffd
	v_cndmask_b32_e64 v63, 0, 1, vcc_lo
	v_add_co_ci_u32_e64 v58, null, 0, v58, vcc_lo
	s_delay_alu instid0(VALU_DEP_2)
	v_lshrrev_b32_e32 v62, v63, v62
; %bb.574:
	s_wait_alu 0xfffe
	s_and_not1_saveexec_b32 s0, s0
; %bb.575:
	s_delay_alu instid0(VALU_DEP_1)
	v_bfe_u32 v58, v62, 23, 1
; %bb.576:
	s_wait_alu 0xfffe
	s_or_b32 exec_lo, exec_lo, s0
	v_lshrrev_b32_e32 v62, 20, v62
	s_delay_alu instid0(VALU_DEP_2) | instskip(SKIP_3) | instid1(VALU_DEP_2)
	v_cmp_gt_i32_e32 vcc_lo, 16, v58
	v_lshrrev_b32_e32 v59, 24, v59
	v_min_i32_e32 v63, 15, v58
	s_wait_alu 0xfffd
	v_dual_cndmask_b32 v62, 7, v62 :: v_dual_and_b32 v59, 0x80, v59
	s_delay_alu instid0(VALU_DEP_2) | instskip(NEXT) | instid1(VALU_DEP_2)
	v_lshlrev_b32_e32 v63, 3, v63
	v_and_b32_e32 v64, 7, v62
	v_or_b32_e32 v58, v58, v62
	s_delay_alu instid0(VALU_DEP_2) | instskip(NEXT) | instid1(VALU_DEP_2)
	v_or3_b32 v59, v59, v63, v64
	v_cmp_ne_u32_e32 vcc_lo, 0, v58
	s_delay_alu instid0(VALU_DEP_2) | instskip(SKIP_1) | instid1(VALU_DEP_1)
	v_lshlrev_b32_e32 v59, 24, v59
	s_wait_alu 0xfffd
	v_cndmask_b32_e32 v58, 0, v59, vcc_lo
.LBB3_577:
	s_wait_alu 0xfffe
	s_or_b32 exec_lo, exec_lo, s6
.LBB3_578:
	s_delay_alu instid0(SALU_CYCLE_1) | instskip(SKIP_3) | instid1(VALU_DEP_1)
	s_or_b32 exec_lo, exec_lo, s2
	v_or_b32_e32 v56, v56, v61
	s_mov_b32 s0, s14
	s_mov_b32 s2, s5
	v_or3_b32 v56, v57, v56, v58
	buffer_store_b32 v56, v60, s[0:3], null offen offset:4
	s_wait_dscnt 0x0
	s_barrier_signal -1
	s_barrier_wait -1
	ds_store_2addr_stride64_b32 v209, v48, v49 offset1:1
	ds_store_2addr_stride64_b32 v209, v50, v51 offset0:2 offset1:3
	ds_store_2addr_stride64_b32 v209, v52, v53 offset0:4 offset1:5
	;; [unrolled: 1-line block ×3, first 2 shown]
	s_wait_dscnt 0x0
	s_barrier_signal -1
	s_barrier_wait -1
	ds_load_b128 v[48:51], v208
	s_wait_dscnt 0x0
	v_and_b32_e32 v52, 0x7f800000, v48
	s_delay_alu instid0(VALU_DEP_1)
	v_cmp_ne_u32_e32 vcc_lo, 0x7f800000, v52
	v_mov_b32_e32 v52, 0x80
	s_and_saveexec_b32 s2, vcc_lo
	s_cbranch_execz .LBB3_586
; %bb.579:
	v_mov_b32_e32 v52, 0
	s_mov_b32 s6, exec_lo
	v_cmpx_ne_u32_e32 0, v48
	s_cbranch_execz .LBB3_585
; %bb.580:
	v_bfe_u32 v52, v48, 23, 8
	s_delay_alu instid0(VALU_DEP_1) | instskip(SKIP_2) | instid1(VALU_DEP_2)
	v_sub_nc_u32_e32 v54, 0x78, v52
	v_cmp_gt_u32_e32 vcc_lo, 0x79, v52
	s_wait_alu 0xfffd
	v_dual_cndmask_b32 v54, 0, v54 :: v_dual_and_b32 v53, 0x7fffff, v48
	s_delay_alu instid0(VALU_DEP_1) | instskip(SKIP_2) | instid1(VALU_DEP_2)
	v_or_b32_e32 v55, 0x800000, v53
	v_cmp_eq_u32_e32 vcc_lo, 0, v52
	s_wait_alu 0xfffd
	v_dual_cndmask_b32 v53, v55, v53 :: v_dual_add_nc_u32 v52, 0xffffff89, v52
	v_cndmask_b32_e64 v54, v54, 0x77, vcc_lo
	s_delay_alu instid0(VALU_DEP_2) | instskip(NEXT) | instid1(VALU_DEP_2)
	v_cndmask_b32_e64 v52, v52, 0xffffff8a, vcc_lo
	v_lshrrev_b32_e32 v56, v54, v53
	v_lshl_add_u32 v55, 0x100000, v54, -1
	v_lshlrev_b32_e64 v58, v54, 0x80000
	s_delay_alu instid0(VALU_DEP_4) | instskip(NEXT) | instid1(VALU_DEP_4)
	v_add_nc_u32_e32 v54, v54, v52
	v_bfe_u32 v57, v56, 20, 1
	s_delay_alu instid0(VALU_DEP_4) | instskip(NEXT) | instid1(VALU_DEP_2)
	v_and_b32_e32 v53, v55, v53
	v_add_nc_u32_e32 v55, -1, v57
	s_delay_alu instid0(VALU_DEP_2) | instskip(SKIP_1) | instid1(VALU_DEP_1)
	v_cmp_eq_u32_e64 s0, v53, v58
	s_wait_alu 0xf1ff
	v_cndmask_b32_e64 v53, 0, v55, s0
	v_lshrrev_b32_e32 v55, 23, v56
	s_mov_b32 s0, exec_lo
	s_delay_alu instid0(VALU_DEP_2) | instskip(NEXT) | instid1(VALU_DEP_2)
	v_add_nc_u32_e32 v53, v53, v56
	v_xor_b32_e32 v55, 1, v55
	s_delay_alu instid0(VALU_DEP_2) | instskip(NEXT) | instid1(VALU_DEP_1)
	v_and_b32_e32 v52, 0xfffff, v53
	v_add_nc_u32_e32 v53, v52, v56
                                        ; implicit-def: $vgpr52
	s_delay_alu instid0(VALU_DEP_3)
	v_cmpx_ne_u32_e64 v54, v55
	s_wait_alu 0xfffe
	s_xor_b32 s0, exec_lo, s0
; %bb.581:
	s_delay_alu instid0(VALU_DEP_2) | instskip(SKIP_3) | instid1(VALU_DEP_2)
	v_cmp_lt_u32_e32 vcc_lo, 0xffffff, v53
	v_sub_nc_u32_e32 v52, v54, v55
	s_wait_alu 0xfffd
	v_cndmask_b32_e64 v54, 0, 1, vcc_lo
	v_add_co_ci_u32_e64 v52, null, 0, v52, vcc_lo
	s_delay_alu instid0(VALU_DEP_2)
	v_lshrrev_b32_e32 v53, v54, v53
; %bb.582:
	s_wait_alu 0xfffe
	s_and_not1_saveexec_b32 s0, s0
; %bb.583:
	s_delay_alu instid0(VALU_DEP_1)
	v_bfe_u32 v52, v53, 23, 1
; %bb.584:
	s_wait_alu 0xfffe
	s_or_b32 exec_lo, exec_lo, s0
	v_lshrrev_b32_e32 v53, 20, v53
	s_delay_alu instid0(VALU_DEP_2) | instskip(SKIP_3) | instid1(VALU_DEP_2)
	v_cmp_gt_i32_e32 vcc_lo, 16, v52
	v_min_i32_e32 v54, 15, v52
	v_lshrrev_b32_e32 v48, 24, v48
	s_wait_alu 0xfffd
	v_dual_cndmask_b32 v53, 7, v53 :: v_dual_lshlrev_b32 v54, 3, v54
	s_delay_alu instid0(VALU_DEP_2) | instskip(NEXT) | instid1(VALU_DEP_2)
	v_and_b32_e32 v48, 0x80, v48
	v_or_b32_e32 v52, v52, v53
	s_delay_alu instid0(VALU_DEP_3) | instskip(NEXT) | instid1(VALU_DEP_2)
	v_and_b32_e32 v54, 0xf8, v54
	v_cmp_ne_u32_e32 vcc_lo, 0, v52
	v_and_b32_e32 v55, 7, v53
	s_delay_alu instid0(VALU_DEP_1) | instskip(SKIP_1) | instid1(VALU_DEP_1)
	v_or3_b32 v48, v54, v48, v55
	s_wait_alu 0xfffd
	v_cndmask_b32_e32 v52, 0, v48, vcc_lo
.LBB3_585:
	s_wait_alu 0xfffe
	s_or_b32 exec_lo, exec_lo, s6
.LBB3_586:
	s_delay_alu instid0(SALU_CYCLE_1) | instskip(SKIP_3) | instid1(VALU_DEP_2)
	s_or_b32 exec_lo, exec_lo, s2
	v_and_b32_e32 v48, 0x7f800000, v49
	v_mov_b32_e32 v53, 0x8000
	s_mov_b32 s2, exec_lo
	v_cmpx_ne_u32_e32 0x7f800000, v48
	s_cbranch_execz .LBB3_594
; %bb.587:
	v_mov_b32_e32 v53, 0
	s_mov_b32 s6, exec_lo
	v_cmpx_ne_u32_e32 0, v49
	s_cbranch_execz .LBB3_593
; %bb.588:
	v_bfe_u32 v48, v49, 23, 8
	s_delay_alu instid0(VALU_DEP_1) | instskip(SKIP_2) | instid1(VALU_DEP_2)
	v_sub_nc_u32_e32 v54, 0x78, v48
	v_cmp_gt_u32_e32 vcc_lo, 0x79, v48
	s_wait_alu 0xfffd
	v_dual_cndmask_b32 v54, 0, v54 :: v_dual_and_b32 v53, 0x7fffff, v49
	s_delay_alu instid0(VALU_DEP_1) | instskip(SKIP_2) | instid1(VALU_DEP_2)
	v_or_b32_e32 v55, 0x800000, v53
	v_cmp_eq_u32_e32 vcc_lo, 0, v48
	s_wait_alu 0xfffd
	v_dual_cndmask_b32 v53, v55, v53 :: v_dual_add_nc_u32 v48, 0xffffff89, v48
	v_cndmask_b32_e64 v54, v54, 0x77, vcc_lo
	s_delay_alu instid0(VALU_DEP_2) | instskip(NEXT) | instid1(VALU_DEP_2)
	v_cndmask_b32_e64 v48, v48, 0xffffff8a, vcc_lo
	v_lshrrev_b32_e32 v56, v54, v53
	v_lshl_add_u32 v55, 0x100000, v54, -1
	v_lshlrev_b32_e64 v58, v54, 0x80000
	s_delay_alu instid0(VALU_DEP_4) | instskip(NEXT) | instid1(VALU_DEP_4)
	v_add_nc_u32_e32 v54, v54, v48
	v_bfe_u32 v57, v56, 20, 1
	s_delay_alu instid0(VALU_DEP_4) | instskip(NEXT) | instid1(VALU_DEP_2)
	v_and_b32_e32 v53, v55, v53
	v_add_nc_u32_e32 v55, -1, v57
	s_delay_alu instid0(VALU_DEP_2) | instskip(SKIP_1) | instid1(VALU_DEP_1)
	v_cmp_eq_u32_e64 s0, v53, v58
	s_wait_alu 0xf1ff
	v_cndmask_b32_e64 v53, 0, v55, s0
	v_lshrrev_b32_e32 v55, 23, v56
	s_mov_b32 s0, exec_lo
	s_delay_alu instid0(VALU_DEP_2) | instskip(NEXT) | instid1(VALU_DEP_2)
	v_add_nc_u32_e32 v53, v53, v56
	v_xor_b32_e32 v55, 1, v55
	s_delay_alu instid0(VALU_DEP_2) | instskip(NEXT) | instid1(VALU_DEP_1)
	v_and_b32_e32 v48, 0xfffff, v53
	v_add_nc_u32_e32 v53, v48, v56
                                        ; implicit-def: $vgpr48
	s_delay_alu instid0(VALU_DEP_3)
	v_cmpx_ne_u32_e64 v54, v55
	s_wait_alu 0xfffe
	s_xor_b32 s0, exec_lo, s0
; %bb.589:
	s_delay_alu instid0(VALU_DEP_2) | instskip(SKIP_3) | instid1(VALU_DEP_2)
	v_cmp_lt_u32_e32 vcc_lo, 0xffffff, v53
	v_sub_nc_u32_e32 v48, v54, v55
	s_wait_alu 0xfffd
	v_cndmask_b32_e64 v54, 0, 1, vcc_lo
	v_add_co_ci_u32_e64 v48, null, 0, v48, vcc_lo
	s_delay_alu instid0(VALU_DEP_2)
	v_lshrrev_b32_e32 v53, v54, v53
; %bb.590:
	s_wait_alu 0xfffe
	s_and_not1_saveexec_b32 s0, s0
; %bb.591:
	s_delay_alu instid0(VALU_DEP_1)
	v_bfe_u32 v48, v53, 23, 1
; %bb.592:
	s_wait_alu 0xfffe
	s_or_b32 exec_lo, exec_lo, s0
	v_lshrrev_b32_e32 v53, 20, v53
	s_delay_alu instid0(VALU_DEP_2) | instskip(SKIP_3) | instid1(VALU_DEP_2)
	v_cmp_gt_i32_e32 vcc_lo, 16, v48
	v_min_i32_e32 v54, 15, v48
	v_lshrrev_b32_e32 v49, 24, v49
	s_wait_alu 0xfffd
	v_dual_cndmask_b32 v53, 7, v53 :: v_dual_lshlrev_b32 v54, 3, v54
	s_delay_alu instid0(VALU_DEP_2) | instskip(NEXT) | instid1(VALU_DEP_2)
	v_and_b32_e32 v49, 0x80, v49
	v_or_b32_e32 v48, v48, v53
	v_and_b32_e32 v55, 7, v53
	s_delay_alu instid0(VALU_DEP_2) | instskip(SKIP_1) | instid1(VALU_DEP_1)
	v_cmp_ne_u32_e32 vcc_lo, 0, v48
	v_and_b32_e32 v54, 0xf8, v54
	v_or3_b32 v49, v49, v54, v55
	s_delay_alu instid0(VALU_DEP_1) | instskip(SKIP_1) | instid1(VALU_DEP_1)
	v_lshlrev_b32_e32 v49, 8, v49
	s_wait_alu 0xfffd
	v_cndmask_b32_e32 v53, 0, v49, vcc_lo
.LBB3_593:
	s_wait_alu 0xfffe
	s_or_b32 exec_lo, exec_lo, s6
.LBB3_594:
	s_delay_alu instid0(SALU_CYCLE_1) | instskip(SKIP_3) | instid1(VALU_DEP_2)
	s_or_b32 exec_lo, exec_lo, s2
	v_and_b32_e32 v48, 0x7f800000, v50
	v_mov_b32_e32 v54, 0x800000
	s_mov_b32 s2, exec_lo
	v_cmpx_ne_u32_e32 0x7f800000, v48
	s_cbranch_execz .LBB3_602
; %bb.595:
	v_mov_b32_e32 v54, 0
	s_mov_b32 s6, exec_lo
	v_cmpx_ne_u32_e32 0, v50
	s_cbranch_execz .LBB3_601
; %bb.596:
	v_bfe_u32 v48, v50, 23, 8
	v_and_b32_e32 v49, 0x7fffff, v50
	s_delay_alu instid0(VALU_DEP_2) | instskip(SKIP_1) | instid1(VALU_DEP_3)
	v_sub_nc_u32_e32 v54, 0x78, v48
	v_cmp_gt_u32_e32 vcc_lo, 0x79, v48
	v_or_b32_e32 v55, 0x800000, v49
	s_wait_alu 0xfffd
	s_delay_alu instid0(VALU_DEP_3) | instskip(SKIP_3) | instid1(VALU_DEP_3)
	v_cndmask_b32_e32 v54, 0, v54, vcc_lo
	v_cmp_eq_u32_e32 vcc_lo, 0, v48
	s_wait_alu 0xfffd
	v_dual_cndmask_b32 v49, v55, v49 :: v_dual_add_nc_u32 v48, 0xffffff89, v48
	v_cndmask_b32_e64 v54, v54, 0x77, vcc_lo
	s_delay_alu instid0(VALU_DEP_2) | instskip(NEXT) | instid1(VALU_DEP_2)
	v_cndmask_b32_e64 v48, v48, 0xffffff8a, vcc_lo
	v_lshrrev_b32_e32 v56, v54, v49
	v_lshl_add_u32 v55, 0x100000, v54, -1
	v_lshlrev_b32_e64 v58, v54, 0x80000
	s_delay_alu instid0(VALU_DEP_4) | instskip(NEXT) | instid1(VALU_DEP_4)
	v_add_nc_u32_e32 v54, v54, v48
	v_bfe_u32 v57, v56, 20, 1
	s_delay_alu instid0(VALU_DEP_4) | instskip(NEXT) | instid1(VALU_DEP_2)
	v_and_b32_e32 v49, v55, v49
	v_add_nc_u32_e32 v55, -1, v57
	s_delay_alu instid0(VALU_DEP_2) | instskip(SKIP_1) | instid1(VALU_DEP_1)
	v_cmp_eq_u32_e64 s0, v49, v58
	s_wait_alu 0xf1ff
	v_cndmask_b32_e64 v49, 0, v55, s0
	v_lshrrev_b32_e32 v55, 23, v56
	s_mov_b32 s0, exec_lo
	s_delay_alu instid0(VALU_DEP_2) | instskip(NEXT) | instid1(VALU_DEP_2)
	v_add_nc_u32_e32 v49, v49, v56
	v_xor_b32_e32 v55, 1, v55
	s_delay_alu instid0(VALU_DEP_2) | instskip(NEXT) | instid1(VALU_DEP_1)
	v_and_b32_e32 v48, 0xfffff, v49
	v_add_nc_u32_e32 v49, v48, v56
                                        ; implicit-def: $vgpr48
	s_delay_alu instid0(VALU_DEP_3)
	v_cmpx_ne_u32_e64 v54, v55
	s_wait_alu 0xfffe
	s_xor_b32 s0, exec_lo, s0
; %bb.597:
	s_delay_alu instid0(VALU_DEP_2) | instskip(SKIP_3) | instid1(VALU_DEP_2)
	v_cmp_lt_u32_e32 vcc_lo, 0xffffff, v49
	v_sub_nc_u32_e32 v48, v54, v55
	s_wait_alu 0xfffd
	v_cndmask_b32_e64 v54, 0, 1, vcc_lo
	v_add_co_ci_u32_e64 v48, null, 0, v48, vcc_lo
	s_delay_alu instid0(VALU_DEP_2)
	v_lshrrev_b32_e32 v49, v54, v49
; %bb.598:
	s_wait_alu 0xfffe
	s_and_not1_saveexec_b32 s0, s0
; %bb.599:
	s_delay_alu instid0(VALU_DEP_1)
	v_bfe_u32 v48, v49, 23, 1
; %bb.600:
	s_wait_alu 0xfffe
	s_or_b32 exec_lo, exec_lo, s0
	v_lshrrev_b32_e32 v49, 20, v49
	s_delay_alu instid0(VALU_DEP_2) | instskip(SKIP_3) | instid1(VALU_DEP_3)
	v_min_i32_e32 v54, 15, v48
	v_cmp_gt_i32_e32 vcc_lo, 16, v48
	v_lshrrev_b32_e32 v50, 24, v50
	s_wait_alu 0xfffd
	v_dual_cndmask_b32 v49, 7, v49 :: v_dual_lshlrev_b32 v54, 3, v54
	s_delay_alu instid0(VALU_DEP_2) | instskip(NEXT) | instid1(VALU_DEP_2)
	v_and_b32_e32 v50, 0x80, v50
	v_and_b32_e32 v54, 0xf8, v54
	s_delay_alu instid0(VALU_DEP_3) | instskip(SKIP_1) | instid1(VALU_DEP_2)
	v_and_b32_e32 v55, 7, v49
	v_or_b32_e32 v48, v48, v49
	v_or3_b32 v50, v50, v54, v55
	s_delay_alu instid0(VALU_DEP_2) | instskip(NEXT) | instid1(VALU_DEP_2)
	v_cmp_ne_u32_e32 vcc_lo, 0, v48
	v_lshlrev_b32_e32 v49, 16, v50
	s_wait_alu 0xfffd
	s_delay_alu instid0(VALU_DEP_1)
	v_cndmask_b32_e32 v54, 0, v49, vcc_lo
.LBB3_601:
	s_wait_alu 0xfffe
	s_or_b32 exec_lo, exec_lo, s6
.LBB3_602:
	s_delay_alu instid0(SALU_CYCLE_1) | instskip(SKIP_3) | instid1(VALU_DEP_2)
	s_or_b32 exec_lo, exec_lo, s2
	v_and_b32_e32 v48, 0x7f800000, v51
	v_bfrev_b32_e32 v55, 1
	s_mov_b32 s2, exec_lo
	v_cmpx_ne_u32_e32 0x7f800000, v48
	s_cbranch_execz .LBB3_610
; %bb.603:
	v_mov_b32_e32 v55, 0
	s_mov_b32 s6, exec_lo
	v_cmpx_ne_u32_e32 0, v51
	s_cbranch_execz .LBB3_609
; %bb.604:
	v_bfe_u32 v48, v51, 23, 8
	s_delay_alu instid0(VALU_DEP_1) | instskip(SKIP_2) | instid1(VALU_DEP_2)
	v_sub_nc_u32_e32 v50, 0x78, v48
	v_cmp_gt_u32_e32 vcc_lo, 0x79, v48
	s_wait_alu 0xfffd
	v_dual_cndmask_b32 v50, 0, v50 :: v_dual_and_b32 v49, 0x7fffff, v51
	s_delay_alu instid0(VALU_DEP_1) | instskip(SKIP_2) | instid1(VALU_DEP_2)
	v_or_b32_e32 v55, 0x800000, v49
	v_cmp_eq_u32_e32 vcc_lo, 0, v48
	s_wait_alu 0xfffd
	v_dual_cndmask_b32 v49, v55, v49 :: v_dual_add_nc_u32 v48, 0xffffff89, v48
	v_cndmask_b32_e64 v50, v50, 0x77, vcc_lo
	s_delay_alu instid0(VALU_DEP_2) | instskip(NEXT) | instid1(VALU_DEP_2)
	v_cndmask_b32_e64 v48, v48, 0xffffff8a, vcc_lo
	v_lshrrev_b32_e32 v56, v50, v49
	v_lshl_add_u32 v55, 0x100000, v50, -1
	v_lshlrev_b32_e64 v58, v50, 0x80000
	s_delay_alu instid0(VALU_DEP_4) | instskip(NEXT) | instid1(VALU_DEP_4)
	v_add_nc_u32_e32 v50, v50, v48
	v_bfe_u32 v57, v56, 20, 1
	s_delay_alu instid0(VALU_DEP_4) | instskip(NEXT) | instid1(VALU_DEP_2)
	v_and_b32_e32 v49, v55, v49
	v_add_nc_u32_e32 v55, -1, v57
	s_delay_alu instid0(VALU_DEP_2) | instskip(SKIP_1) | instid1(VALU_DEP_1)
	v_cmp_eq_u32_e64 s0, v49, v58
	s_wait_alu 0xf1ff
	v_cndmask_b32_e64 v49, 0, v55, s0
	v_lshrrev_b32_e32 v55, 23, v56
	s_mov_b32 s0, exec_lo
	s_delay_alu instid0(VALU_DEP_2) | instskip(NEXT) | instid1(VALU_DEP_2)
	v_add_nc_u32_e32 v49, v49, v56
	v_xor_b32_e32 v55, 1, v55
	s_delay_alu instid0(VALU_DEP_2) | instskip(NEXT) | instid1(VALU_DEP_1)
	v_and_b32_e32 v48, 0xfffff, v49
	v_add_nc_u32_e32 v49, v48, v56
                                        ; implicit-def: $vgpr48
	s_delay_alu instid0(VALU_DEP_3)
	v_cmpx_ne_u32_e64 v50, v55
	s_wait_alu 0xfffe
	s_xor_b32 s0, exec_lo, s0
; %bb.605:
	s_delay_alu instid0(VALU_DEP_2) | instskip(SKIP_3) | instid1(VALU_DEP_2)
	v_cmp_lt_u32_e32 vcc_lo, 0xffffff, v49
	v_sub_nc_u32_e32 v48, v50, v55
	s_wait_alu 0xfffd
	v_cndmask_b32_e64 v50, 0, 1, vcc_lo
	v_add_co_ci_u32_e64 v48, null, 0, v48, vcc_lo
	s_delay_alu instid0(VALU_DEP_2)
	v_lshrrev_b32_e32 v49, v50, v49
; %bb.606:
	s_wait_alu 0xfffe
	s_and_not1_saveexec_b32 s0, s0
; %bb.607:
	s_delay_alu instid0(VALU_DEP_1)
	v_bfe_u32 v48, v49, 23, 1
; %bb.608:
	s_wait_alu 0xfffe
	s_or_b32 exec_lo, exec_lo, s0
	v_lshrrev_b32_e32 v49, 20, v49
	s_delay_alu instid0(VALU_DEP_2) | instskip(SKIP_3) | instid1(VALU_DEP_2)
	v_cmp_gt_i32_e32 vcc_lo, 16, v48
	v_lshrrev_b32_e32 v50, 24, v51
	v_min_i32_e32 v51, 15, v48
	s_wait_alu 0xfffd
	v_dual_cndmask_b32 v49, 7, v49 :: v_dual_and_b32 v50, 0x80, v50
	s_delay_alu instid0(VALU_DEP_2) | instskip(NEXT) | instid1(VALU_DEP_2)
	v_lshlrev_b32_e32 v51, 3, v51
	v_and_b32_e32 v55, 7, v49
	v_or_b32_e32 v48, v48, v49
	s_delay_alu instid0(VALU_DEP_2) | instskip(NEXT) | instid1(VALU_DEP_2)
	v_or3_b32 v50, v50, v51, v55
	v_cmp_ne_u32_e32 vcc_lo, 0, v48
	s_delay_alu instid0(VALU_DEP_2) | instskip(SKIP_1) | instid1(VALU_DEP_1)
	v_lshlrev_b32_e32 v49, 24, v50
	s_wait_alu 0xfffd
	v_cndmask_b32_e32 v55, 0, v49, vcc_lo
.LBB3_609:
	s_wait_alu 0xfffe
	s_or_b32 exec_lo, exec_lo, s6
.LBB3_610:
	s_delay_alu instid0(SALU_CYCLE_1)
	s_or_b32 exec_lo, exec_lo, s2
	ds_load_b128 v[48:51], v208 offset:16
	v_or_b32_e32 v52, v53, v52
	v_wmma_f32_16x16x16_fp8_fp8 v[40:47], v[164:165], v[148:149], v[40:47]
	s_mov_b32 s0, s14
	s_mov_b32 s2, s5
	s_delay_alu instid0(VALU_DEP_2)
	v_or3_b32 v54, v54, v52, v55
	v_mov_b32_e32 v52, 0x80
	buffer_store_b32 v54, v60, s[0:3], null offen offset:64
	s_mov_b32 s2, exec_lo
	s_wait_dscnt 0x0
	v_and_b32_e32 v53, 0x7f800000, v48
	s_delay_alu instid0(VALU_DEP_1)
	v_cmpx_ne_u32_e32 0x7f800000, v53
	s_cbranch_execz .LBB3_618
; %bb.611:
	v_mov_b32_e32 v52, 0
	s_mov_b32 s6, exec_lo
	v_cmpx_ne_u32_e32 0, v48
	s_cbranch_execz .LBB3_617
; %bb.612:
	v_bfe_u32 v52, v48, 23, 8
	s_delay_alu instid0(VALU_DEP_1) | instskip(SKIP_2) | instid1(VALU_DEP_2)
	v_sub_nc_u32_e32 v54, 0x78, v52
	v_cmp_gt_u32_e32 vcc_lo, 0x79, v52
	s_wait_alu 0xfffd
	v_dual_cndmask_b32 v54, 0, v54 :: v_dual_and_b32 v53, 0x7fffff, v48
	s_delay_alu instid0(VALU_DEP_1) | instskip(SKIP_2) | instid1(VALU_DEP_2)
	v_or_b32_e32 v55, 0x800000, v53
	v_cmp_eq_u32_e32 vcc_lo, 0, v52
	s_wait_alu 0xfffd
	v_dual_cndmask_b32 v53, v55, v53 :: v_dual_add_nc_u32 v52, 0xffffff89, v52
	v_cndmask_b32_e64 v54, v54, 0x77, vcc_lo
	s_delay_alu instid0(VALU_DEP_2) | instskip(NEXT) | instid1(VALU_DEP_2)
	v_cndmask_b32_e64 v52, v52, 0xffffff8a, vcc_lo
	v_lshrrev_b32_e32 v56, v54, v53
	v_lshl_add_u32 v55, 0x100000, v54, -1
	v_lshlrev_b32_e64 v58, v54, 0x80000
	s_delay_alu instid0(VALU_DEP_4) | instskip(NEXT) | instid1(VALU_DEP_4)
	v_add_nc_u32_e32 v54, v54, v52
	v_bfe_u32 v57, v56, 20, 1
	s_delay_alu instid0(VALU_DEP_4) | instskip(NEXT) | instid1(VALU_DEP_2)
	v_and_b32_e32 v53, v55, v53
	v_add_nc_u32_e32 v55, -1, v57
	s_delay_alu instid0(VALU_DEP_2) | instskip(SKIP_1) | instid1(VALU_DEP_1)
	v_cmp_eq_u32_e64 s0, v53, v58
	s_wait_alu 0xf1ff
	v_cndmask_b32_e64 v53, 0, v55, s0
	v_lshrrev_b32_e32 v55, 23, v56
	s_mov_b32 s0, exec_lo
	s_delay_alu instid0(VALU_DEP_2) | instskip(NEXT) | instid1(VALU_DEP_2)
	v_add_nc_u32_e32 v53, v53, v56
	v_xor_b32_e32 v55, 1, v55
	s_delay_alu instid0(VALU_DEP_2) | instskip(NEXT) | instid1(VALU_DEP_1)
	v_and_b32_e32 v52, 0xfffff, v53
	v_add_nc_u32_e32 v53, v52, v56
                                        ; implicit-def: $vgpr52
	s_delay_alu instid0(VALU_DEP_3)
	v_cmpx_ne_u32_e64 v54, v55
	s_wait_alu 0xfffe
	s_xor_b32 s0, exec_lo, s0
; %bb.613:
	s_delay_alu instid0(VALU_DEP_2) | instskip(SKIP_3) | instid1(VALU_DEP_2)
	v_cmp_lt_u32_e32 vcc_lo, 0xffffff, v53
	v_sub_nc_u32_e32 v52, v54, v55
	s_wait_alu 0xfffd
	v_cndmask_b32_e64 v54, 0, 1, vcc_lo
	v_add_co_ci_u32_e64 v52, null, 0, v52, vcc_lo
	s_delay_alu instid0(VALU_DEP_2)
	v_lshrrev_b32_e32 v53, v54, v53
; %bb.614:
	s_wait_alu 0xfffe
	s_and_not1_saveexec_b32 s0, s0
; %bb.615:
	s_delay_alu instid0(VALU_DEP_1)
	v_bfe_u32 v52, v53, 23, 1
; %bb.616:
	s_wait_alu 0xfffe
	s_or_b32 exec_lo, exec_lo, s0
	v_lshrrev_b32_e32 v53, 20, v53
	s_delay_alu instid0(VALU_DEP_2) | instskip(SKIP_3) | instid1(VALU_DEP_2)
	v_cmp_gt_i32_e32 vcc_lo, 16, v52
	v_min_i32_e32 v54, 15, v52
	v_lshrrev_b32_e32 v48, 24, v48
	s_wait_alu 0xfffd
	v_dual_cndmask_b32 v53, 7, v53 :: v_dual_lshlrev_b32 v54, 3, v54
	s_delay_alu instid0(VALU_DEP_2) | instskip(NEXT) | instid1(VALU_DEP_2)
	v_and_b32_e32 v48, 0x80, v48
	v_or_b32_e32 v52, v52, v53
	s_delay_alu instid0(VALU_DEP_3) | instskip(NEXT) | instid1(VALU_DEP_2)
	v_and_b32_e32 v54, 0xf8, v54
	v_cmp_ne_u32_e32 vcc_lo, 0, v52
	v_and_b32_e32 v55, 7, v53
	s_delay_alu instid0(VALU_DEP_1) | instskip(SKIP_1) | instid1(VALU_DEP_1)
	v_or3_b32 v48, v54, v48, v55
	s_wait_alu 0xfffd
	v_cndmask_b32_e32 v52, 0, v48, vcc_lo
.LBB3_617:
	s_wait_alu 0xfffe
	s_or_b32 exec_lo, exec_lo, s6
.LBB3_618:
	s_delay_alu instid0(SALU_CYCLE_1) | instskip(SKIP_2) | instid1(VALU_DEP_2)
	s_or_b32 exec_lo, exec_lo, s2
	v_and_b32_e32 v48, 0x7f800000, v49
	v_wmma_f32_16x16x16_fp8_fp8 v[40:47], v[166:167], v[150:151], v[40:47]
	v_cmp_ne_u32_e32 vcc_lo, 0x7f800000, v48
	v_mov_b32_e32 v48, 0x8000
	s_and_saveexec_b32 s2, vcc_lo
	s_cbranch_execz .LBB3_626
; %bb.619:
	v_mov_b32_e32 v48, 0
	s_mov_b32 s6, exec_lo
	v_cmpx_ne_u32_e32 0, v49
	s_cbranch_execz .LBB3_625
; %bb.620:
	v_bfe_u32 v48, v49, 23, 8
	s_delay_alu instid0(VALU_DEP_1) | instskip(SKIP_2) | instid1(VALU_DEP_2)
	v_sub_nc_u32_e32 v54, 0x78, v48
	v_cmp_gt_u32_e32 vcc_lo, 0x79, v48
	s_wait_alu 0xfffd
	v_dual_cndmask_b32 v54, 0, v54 :: v_dual_and_b32 v53, 0x7fffff, v49
	s_delay_alu instid0(VALU_DEP_1) | instskip(SKIP_2) | instid1(VALU_DEP_2)
	v_or_b32_e32 v55, 0x800000, v53
	v_cmp_eq_u32_e32 vcc_lo, 0, v48
	s_wait_alu 0xfffd
	v_dual_cndmask_b32 v53, v55, v53 :: v_dual_add_nc_u32 v48, 0xffffff89, v48
	v_cndmask_b32_e64 v54, v54, 0x77, vcc_lo
	s_delay_alu instid0(VALU_DEP_2) | instskip(NEXT) | instid1(VALU_DEP_2)
	v_cndmask_b32_e64 v48, v48, 0xffffff8a, vcc_lo
	v_lshrrev_b32_e32 v56, v54, v53
	v_lshl_add_u32 v55, 0x100000, v54, -1
	v_lshlrev_b32_e64 v58, v54, 0x80000
	s_delay_alu instid0(VALU_DEP_4) | instskip(NEXT) | instid1(VALU_DEP_4)
	v_add_nc_u32_e32 v54, v54, v48
	v_bfe_u32 v57, v56, 20, 1
	s_delay_alu instid0(VALU_DEP_4) | instskip(NEXT) | instid1(VALU_DEP_2)
	v_and_b32_e32 v53, v55, v53
	v_add_nc_u32_e32 v55, -1, v57
	s_delay_alu instid0(VALU_DEP_2) | instskip(SKIP_1) | instid1(VALU_DEP_1)
	v_cmp_eq_u32_e64 s0, v53, v58
	s_wait_alu 0xf1ff
	v_cndmask_b32_e64 v53, 0, v55, s0
	v_lshrrev_b32_e32 v55, 23, v56
	s_mov_b32 s0, exec_lo
	s_delay_alu instid0(VALU_DEP_2) | instskip(NEXT) | instid1(VALU_DEP_2)
	v_add_nc_u32_e32 v53, v53, v56
	v_xor_b32_e32 v55, 1, v55
	s_delay_alu instid0(VALU_DEP_2) | instskip(NEXT) | instid1(VALU_DEP_1)
	v_and_b32_e32 v48, 0xfffff, v53
	v_add_nc_u32_e32 v53, v48, v56
                                        ; implicit-def: $vgpr48
	s_delay_alu instid0(VALU_DEP_3)
	v_cmpx_ne_u32_e64 v54, v55
	s_wait_alu 0xfffe
	s_xor_b32 s0, exec_lo, s0
; %bb.621:
	s_delay_alu instid0(VALU_DEP_2) | instskip(SKIP_3) | instid1(VALU_DEP_2)
	v_cmp_lt_u32_e32 vcc_lo, 0xffffff, v53
	v_sub_nc_u32_e32 v48, v54, v55
	s_wait_alu 0xfffd
	v_cndmask_b32_e64 v54, 0, 1, vcc_lo
	v_add_co_ci_u32_e64 v48, null, 0, v48, vcc_lo
	s_delay_alu instid0(VALU_DEP_2)
	v_lshrrev_b32_e32 v53, v54, v53
; %bb.622:
	s_wait_alu 0xfffe
	s_and_not1_saveexec_b32 s0, s0
; %bb.623:
	s_delay_alu instid0(VALU_DEP_1)
	v_bfe_u32 v48, v53, 23, 1
; %bb.624:
	s_wait_alu 0xfffe
	s_or_b32 exec_lo, exec_lo, s0
	v_lshrrev_b32_e32 v53, 20, v53
	s_delay_alu instid0(VALU_DEP_2) | instskip(SKIP_3) | instid1(VALU_DEP_3)
	v_min_i32_e32 v54, 15, v48
	v_cmp_gt_i32_e32 vcc_lo, 16, v48
	v_lshrrev_b32_e32 v49, 24, v49
	s_wait_alu 0xfffd
	v_dual_cndmask_b32 v53, 7, v53 :: v_dual_lshlrev_b32 v54, 3, v54
	s_delay_alu instid0(VALU_DEP_2) | instskip(NEXT) | instid1(VALU_DEP_2)
	v_and_b32_e32 v49, 0x80, v49
	v_and_b32_e32 v54, 0xf8, v54
	s_delay_alu instid0(VALU_DEP_3) | instskip(SKIP_1) | instid1(VALU_DEP_2)
	v_and_b32_e32 v55, 7, v53
	v_or_b32_e32 v48, v48, v53
	v_or3_b32 v49, v49, v54, v55
	s_delay_alu instid0(VALU_DEP_2) | instskip(NEXT) | instid1(VALU_DEP_2)
	v_cmp_ne_u32_e32 vcc_lo, 0, v48
	v_lshlrev_b32_e32 v49, 8, v49
	s_wait_alu 0xfffd
	s_delay_alu instid0(VALU_DEP_1)
	v_cndmask_b32_e32 v48, 0, v49, vcc_lo
.LBB3_625:
	s_wait_alu 0xfffe
	s_or_b32 exec_lo, exec_lo, s6
.LBB3_626:
	s_delay_alu instid0(SALU_CYCLE_1) | instskip(SKIP_2) | instid1(VALU_DEP_2)
	s_or_b32 exec_lo, exec_lo, s2
	v_and_b32_e32 v49, 0x7f800000, v50
	v_wmma_f32_16x16x16_fp8_fp8 v[40:47], v[160:161], v[144:145], v[40:47]
	v_cmp_ne_u32_e32 vcc_lo, 0x7f800000, v49
	v_mov_b32_e32 v49, 0x800000
	s_and_saveexec_b32 s2, vcc_lo
	s_cbranch_execz .LBB3_634
; %bb.627:
	v_mov_b32_e32 v49, 0
	s_mov_b32 s6, exec_lo
	v_cmpx_ne_u32_e32 0, v50
	s_cbranch_execz .LBB3_633
; %bb.628:
	v_bfe_u32 v49, v50, 23, 8
	v_and_b32_e32 v53, 0x7fffff, v50
	s_delay_alu instid0(VALU_DEP_2) | instskip(SKIP_1) | instid1(VALU_DEP_3)
	v_sub_nc_u32_e32 v54, 0x78, v49
	v_cmp_gt_u32_e32 vcc_lo, 0x79, v49
	v_or_b32_e32 v55, 0x800000, v53
	s_wait_alu 0xfffd
	s_delay_alu instid0(VALU_DEP_3)
	v_cndmask_b32_e32 v54, 0, v54, vcc_lo
	v_cmp_eq_u32_e32 vcc_lo, 0, v49
	v_add_nc_u32_e32 v49, 0xffffff89, v49
	s_wait_alu 0xfffd
	v_cndmask_b32_e32 v53, v55, v53, vcc_lo
	v_cndmask_b32_e64 v54, v54, 0x77, vcc_lo
	s_delay_alu instid0(VALU_DEP_3) | instskip(NEXT) | instid1(VALU_DEP_2)
	v_cndmask_b32_e64 v49, v49, 0xffffff8a, vcc_lo
	v_lshrrev_b32_e32 v56, v54, v53
	v_lshl_add_u32 v55, 0x100000, v54, -1
	v_lshlrev_b32_e64 v58, v54, 0x80000
	s_delay_alu instid0(VALU_DEP_4) | instskip(NEXT) | instid1(VALU_DEP_4)
	v_add_nc_u32_e32 v54, v54, v49
	v_bfe_u32 v57, v56, 20, 1
	s_delay_alu instid0(VALU_DEP_4) | instskip(NEXT) | instid1(VALU_DEP_2)
	v_and_b32_e32 v53, v55, v53
	v_add_nc_u32_e32 v55, -1, v57
	s_delay_alu instid0(VALU_DEP_2) | instskip(SKIP_1) | instid1(VALU_DEP_1)
	v_cmp_eq_u32_e64 s0, v53, v58
	s_wait_alu 0xf1ff
	v_cndmask_b32_e64 v53, 0, v55, s0
	v_lshrrev_b32_e32 v55, 23, v56
	s_mov_b32 s0, exec_lo
	s_delay_alu instid0(VALU_DEP_2) | instskip(NEXT) | instid1(VALU_DEP_2)
	v_add_nc_u32_e32 v53, v53, v56
	v_xor_b32_e32 v55, 1, v55
	s_delay_alu instid0(VALU_DEP_2) | instskip(NEXT) | instid1(VALU_DEP_1)
	v_and_b32_e32 v49, 0xfffff, v53
	v_add_nc_u32_e32 v53, v49, v56
                                        ; implicit-def: $vgpr49
	s_delay_alu instid0(VALU_DEP_3)
	v_cmpx_ne_u32_e64 v54, v55
	s_wait_alu 0xfffe
	s_xor_b32 s0, exec_lo, s0
; %bb.629:
	s_delay_alu instid0(VALU_DEP_2) | instskip(SKIP_3) | instid1(VALU_DEP_2)
	v_cmp_lt_u32_e32 vcc_lo, 0xffffff, v53
	v_sub_nc_u32_e32 v49, v54, v55
	s_wait_alu 0xfffd
	v_cndmask_b32_e64 v54, 0, 1, vcc_lo
	v_add_co_ci_u32_e64 v49, null, 0, v49, vcc_lo
	s_delay_alu instid0(VALU_DEP_2)
	v_lshrrev_b32_e32 v53, v54, v53
; %bb.630:
	s_wait_alu 0xfffe
	s_and_not1_saveexec_b32 s0, s0
; %bb.631:
	s_delay_alu instid0(VALU_DEP_1)
	v_bfe_u32 v49, v53, 23, 1
; %bb.632:
	s_wait_alu 0xfffe
	s_or_b32 exec_lo, exec_lo, s0
	v_lshrrev_b32_e32 v53, 20, v53
	s_delay_alu instid0(VALU_DEP_2) | instskip(SKIP_3) | instid1(VALU_DEP_3)
	v_min_i32_e32 v54, 15, v49
	v_cmp_gt_i32_e32 vcc_lo, 16, v49
	v_lshrrev_b32_e32 v50, 24, v50
	s_wait_alu 0xfffd
	v_dual_cndmask_b32 v53, 7, v53 :: v_dual_lshlrev_b32 v54, 3, v54
	s_delay_alu instid0(VALU_DEP_2) | instskip(NEXT) | instid1(VALU_DEP_2)
	v_and_b32_e32 v50, 0x80, v50
	v_and_b32_e32 v54, 0xf8, v54
	s_delay_alu instid0(VALU_DEP_3) | instskip(SKIP_1) | instid1(VALU_DEP_2)
	v_and_b32_e32 v55, 7, v53
	v_or_b32_e32 v49, v49, v53
	v_or3_b32 v50, v50, v54, v55
	s_delay_alu instid0(VALU_DEP_2) | instskip(NEXT) | instid1(VALU_DEP_2)
	v_cmp_ne_u32_e32 vcc_lo, 0, v49
	v_lshlrev_b32_e32 v50, 16, v50
	s_wait_alu 0xfffd
	s_delay_alu instid0(VALU_DEP_1)
	v_cndmask_b32_e32 v49, 0, v50, vcc_lo
.LBB3_633:
	s_wait_alu 0xfffe
	s_or_b32 exec_lo, exec_lo, s6
.LBB3_634:
	s_delay_alu instid0(SALU_CYCLE_1) | instskip(SKIP_2) | instid1(VALU_DEP_2)
	s_or_b32 exec_lo, exec_lo, s2
	v_and_b32_e32 v50, 0x7f800000, v51
	v_wmma_f32_16x16x16_fp8_fp8 v[40:47], v[162:163], v[146:147], v[40:47]
	v_cmp_ne_u32_e32 vcc_lo, 0x7f800000, v50
	v_bfrev_b32_e32 v50, 1
	s_and_saveexec_b32 s2, vcc_lo
	s_cbranch_execz .LBB3_642
; %bb.635:
	v_mov_b32_e32 v50, 0
	s_mov_b32 s6, exec_lo
	v_cmpx_ne_u32_e32 0, v51
	s_cbranch_execz .LBB3_641
; %bb.636:
	v_bfe_u32 v50, v51, 23, 8
	s_delay_alu instid0(VALU_DEP_1) | instskip(SKIP_2) | instid1(VALU_DEP_2)
	v_sub_nc_u32_e32 v54, 0x78, v50
	v_cmp_gt_u32_e32 vcc_lo, 0x79, v50
	s_wait_alu 0xfffd
	v_dual_cndmask_b32 v54, 0, v54 :: v_dual_and_b32 v53, 0x7fffff, v51
	s_delay_alu instid0(VALU_DEP_1) | instskip(SKIP_2) | instid1(VALU_DEP_2)
	v_or_b32_e32 v55, 0x800000, v53
	v_cmp_eq_u32_e32 vcc_lo, 0, v50
	s_wait_alu 0xfffd
	v_dual_cndmask_b32 v53, v55, v53 :: v_dual_add_nc_u32 v50, 0xffffff89, v50
	v_cndmask_b32_e64 v54, v54, 0x77, vcc_lo
	s_delay_alu instid0(VALU_DEP_2) | instskip(NEXT) | instid1(VALU_DEP_2)
	v_cndmask_b32_e64 v50, v50, 0xffffff8a, vcc_lo
	v_lshrrev_b32_e32 v56, v54, v53
	v_lshl_add_u32 v55, 0x100000, v54, -1
	v_lshlrev_b32_e64 v58, v54, 0x80000
	s_delay_alu instid0(VALU_DEP_4) | instskip(NEXT) | instid1(VALU_DEP_4)
	v_add_nc_u32_e32 v54, v54, v50
	v_bfe_u32 v57, v56, 20, 1
	s_delay_alu instid0(VALU_DEP_4) | instskip(NEXT) | instid1(VALU_DEP_2)
	v_and_b32_e32 v53, v55, v53
	v_add_nc_u32_e32 v55, -1, v57
	s_delay_alu instid0(VALU_DEP_2) | instskip(SKIP_1) | instid1(VALU_DEP_1)
	v_cmp_eq_u32_e64 s0, v53, v58
	s_wait_alu 0xf1ff
	v_cndmask_b32_e64 v53, 0, v55, s0
	v_lshrrev_b32_e32 v55, 23, v56
	s_mov_b32 s0, exec_lo
	s_delay_alu instid0(VALU_DEP_2) | instskip(NEXT) | instid1(VALU_DEP_2)
	v_add_nc_u32_e32 v53, v53, v56
	v_xor_b32_e32 v55, 1, v55
	s_delay_alu instid0(VALU_DEP_2) | instskip(NEXT) | instid1(VALU_DEP_1)
	v_and_b32_e32 v50, 0xfffff, v53
	v_add_nc_u32_e32 v53, v50, v56
                                        ; implicit-def: $vgpr50
	s_delay_alu instid0(VALU_DEP_3)
	v_cmpx_ne_u32_e64 v54, v55
	s_wait_alu 0xfffe
	s_xor_b32 s0, exec_lo, s0
; %bb.637:
	s_delay_alu instid0(VALU_DEP_2) | instskip(SKIP_3) | instid1(VALU_DEP_2)
	v_cmp_lt_u32_e32 vcc_lo, 0xffffff, v53
	v_sub_nc_u32_e32 v50, v54, v55
	s_wait_alu 0xfffd
	v_cndmask_b32_e64 v54, 0, 1, vcc_lo
	v_add_co_ci_u32_e64 v50, null, 0, v50, vcc_lo
	s_delay_alu instid0(VALU_DEP_2)
	v_lshrrev_b32_e32 v53, v54, v53
; %bb.638:
	s_wait_alu 0xfffe
	s_and_not1_saveexec_b32 s0, s0
; %bb.639:
	s_delay_alu instid0(VALU_DEP_1)
	v_bfe_u32 v50, v53, 23, 1
; %bb.640:
	s_wait_alu 0xfffe
	s_or_b32 exec_lo, exec_lo, s0
	v_lshrrev_b32_e32 v53, 20, v53
	s_delay_alu instid0(VALU_DEP_2) | instskip(SKIP_3) | instid1(VALU_DEP_2)
	v_cmp_gt_i32_e32 vcc_lo, 16, v50
	v_min_i32_e32 v54, 15, v50
	v_lshrrev_b32_e32 v51, 24, v51
	s_wait_alu 0xfffd
	v_dual_cndmask_b32 v53, 7, v53 :: v_dual_lshlrev_b32 v54, 3, v54
	s_delay_alu instid0(VALU_DEP_2) | instskip(NEXT) | instid1(VALU_DEP_2)
	v_and_b32_e32 v51, 0x80, v51
	v_or_b32_e32 v50, v50, v53
	s_delay_alu instid0(VALU_DEP_1) | instskip(SKIP_1) | instid1(VALU_DEP_1)
	v_cmp_ne_u32_e32 vcc_lo, 0, v50
	v_and_b32_e32 v55, 7, v53
	v_or3_b32 v51, v51, v54, v55
	s_delay_alu instid0(VALU_DEP_1) | instskip(SKIP_1) | instid1(VALU_DEP_1)
	v_lshlrev_b32_e32 v51, 24, v51
	s_wait_alu 0xfffd
	v_cndmask_b32_e32 v50, 0, v51, vcc_lo
.LBB3_641:
	s_wait_alu 0xfffe
	s_or_b32 exec_lo, exec_lo, s6
.LBB3_642:
	s_delay_alu instid0(SALU_CYCLE_1) | instskip(SKIP_3) | instid1(VALU_DEP_1)
	s_or_b32 exec_lo, exec_lo, s2
	v_or_b32_e32 v48, v48, v52
	s_mov_b32 s0, s14
	s_mov_b32 s2, s5
	v_or3_b32 v48, v49, v48, v50
	buffer_store_b32 v48, v60, s[0:3], null offen offset:68
	s_wait_dscnt 0x0
	s_barrier_signal -1
	s_barrier_wait -1
	ds_store_2addr_stride64_b32 v209, v40, v41 offset1:1
	ds_store_2addr_stride64_b32 v209, v42, v43 offset0:2 offset1:3
	ds_store_2addr_stride64_b32 v209, v44, v45 offset0:4 offset1:5
	ds_store_2addr_stride64_b32 v209, v46, v47 offset0:6 offset1:7
	s_wait_dscnt 0x0
	s_barrier_signal -1
	s_barrier_wait -1
	ds_load_b128 v[40:43], v208
	s_wait_dscnt 0x0
	v_and_b32_e32 v44, 0x7f800000, v40
	s_delay_alu instid0(VALU_DEP_1)
	v_cmp_ne_u32_e32 vcc_lo, 0x7f800000, v44
	v_mov_b32_e32 v44, 0x80
	s_and_saveexec_b32 s2, vcc_lo
	s_cbranch_execz .LBB3_650
; %bb.643:
	v_mov_b32_e32 v44, 0
	s_mov_b32 s6, exec_lo
	v_cmpx_ne_u32_e32 0, v40
	s_cbranch_execz .LBB3_649
; %bb.644:
	v_bfe_u32 v44, v40, 23, 8
	s_delay_alu instid0(VALU_DEP_1) | instskip(SKIP_2) | instid1(VALU_DEP_2)
	v_sub_nc_u32_e32 v46, 0x78, v44
	v_cmp_gt_u32_e32 vcc_lo, 0x79, v44
	s_wait_alu 0xfffd
	v_dual_cndmask_b32 v46, 0, v46 :: v_dual_and_b32 v45, 0x7fffff, v40
	s_delay_alu instid0(VALU_DEP_1) | instskip(SKIP_2) | instid1(VALU_DEP_2)
	v_or_b32_e32 v47, 0x800000, v45
	v_cmp_eq_u32_e32 vcc_lo, 0, v44
	s_wait_alu 0xfffd
	v_dual_cndmask_b32 v45, v47, v45 :: v_dual_add_nc_u32 v44, 0xffffff89, v44
	v_cndmask_b32_e64 v46, v46, 0x77, vcc_lo
	s_delay_alu instid0(VALU_DEP_2) | instskip(NEXT) | instid1(VALU_DEP_2)
	v_cndmask_b32_e64 v44, v44, 0xffffff8a, vcc_lo
	v_lshrrev_b32_e32 v48, v46, v45
	v_lshl_add_u32 v47, 0x100000, v46, -1
	v_lshlrev_b32_e64 v50, v46, 0x80000
	s_delay_alu instid0(VALU_DEP_4) | instskip(NEXT) | instid1(VALU_DEP_4)
	v_add_nc_u32_e32 v46, v46, v44
	v_bfe_u32 v49, v48, 20, 1
	s_delay_alu instid0(VALU_DEP_4) | instskip(NEXT) | instid1(VALU_DEP_2)
	v_and_b32_e32 v45, v47, v45
	v_add_nc_u32_e32 v47, -1, v49
	s_delay_alu instid0(VALU_DEP_2) | instskip(SKIP_1) | instid1(VALU_DEP_1)
	v_cmp_eq_u32_e64 s0, v45, v50
	s_wait_alu 0xf1ff
	v_cndmask_b32_e64 v45, 0, v47, s0
	v_lshrrev_b32_e32 v47, 23, v48
	s_mov_b32 s0, exec_lo
	s_delay_alu instid0(VALU_DEP_2) | instskip(NEXT) | instid1(VALU_DEP_2)
	v_add_nc_u32_e32 v45, v45, v48
	v_xor_b32_e32 v47, 1, v47
	s_delay_alu instid0(VALU_DEP_2) | instskip(NEXT) | instid1(VALU_DEP_1)
	v_and_b32_e32 v44, 0xfffff, v45
	v_add_nc_u32_e32 v45, v44, v48
                                        ; implicit-def: $vgpr44
	s_delay_alu instid0(VALU_DEP_3)
	v_cmpx_ne_u32_e64 v46, v47
	s_wait_alu 0xfffe
	s_xor_b32 s0, exec_lo, s0
; %bb.645:
	s_delay_alu instid0(VALU_DEP_2) | instskip(SKIP_3) | instid1(VALU_DEP_2)
	v_cmp_lt_u32_e32 vcc_lo, 0xffffff, v45
	v_sub_nc_u32_e32 v44, v46, v47
	s_wait_alu 0xfffd
	v_cndmask_b32_e64 v46, 0, 1, vcc_lo
	v_add_co_ci_u32_e64 v44, null, 0, v44, vcc_lo
	s_delay_alu instid0(VALU_DEP_2)
	v_lshrrev_b32_e32 v45, v46, v45
; %bb.646:
	s_wait_alu 0xfffe
	s_and_not1_saveexec_b32 s0, s0
; %bb.647:
	s_delay_alu instid0(VALU_DEP_1)
	v_bfe_u32 v44, v45, 23, 1
; %bb.648:
	s_wait_alu 0xfffe
	s_or_b32 exec_lo, exec_lo, s0
	v_lshrrev_b32_e32 v45, 20, v45
	s_delay_alu instid0(VALU_DEP_2) | instskip(SKIP_3) | instid1(VALU_DEP_2)
	v_cmp_gt_i32_e32 vcc_lo, 16, v44
	v_min_i32_e32 v46, 15, v44
	v_lshrrev_b32_e32 v40, 24, v40
	s_wait_alu 0xfffd
	v_dual_cndmask_b32 v45, 7, v45 :: v_dual_lshlrev_b32 v46, 3, v46
	s_delay_alu instid0(VALU_DEP_2) | instskip(NEXT) | instid1(VALU_DEP_2)
	v_and_b32_e32 v40, 0x80, v40
	v_or_b32_e32 v44, v44, v45
	s_delay_alu instid0(VALU_DEP_3) | instskip(NEXT) | instid1(VALU_DEP_2)
	v_and_b32_e32 v46, 0xf8, v46
	v_cmp_ne_u32_e32 vcc_lo, 0, v44
	v_and_b32_e32 v47, 7, v45
	s_delay_alu instid0(VALU_DEP_1) | instskip(SKIP_1) | instid1(VALU_DEP_1)
	v_or3_b32 v40, v46, v40, v47
	s_wait_alu 0xfffd
	v_cndmask_b32_e32 v44, 0, v40, vcc_lo
.LBB3_649:
	s_wait_alu 0xfffe
	s_or_b32 exec_lo, exec_lo, s6
.LBB3_650:
	s_delay_alu instid0(SALU_CYCLE_1) | instskip(SKIP_3) | instid1(VALU_DEP_2)
	s_or_b32 exec_lo, exec_lo, s2
	v_and_b32_e32 v40, 0x7f800000, v41
	v_mov_b32_e32 v45, 0x8000
	s_mov_b32 s2, exec_lo
	v_cmpx_ne_u32_e32 0x7f800000, v40
	s_cbranch_execz .LBB3_658
; %bb.651:
	v_mov_b32_e32 v45, 0
	s_mov_b32 s6, exec_lo
	v_cmpx_ne_u32_e32 0, v41
	s_cbranch_execz .LBB3_657
; %bb.652:
	v_bfe_u32 v40, v41, 23, 8
	s_delay_alu instid0(VALU_DEP_1) | instskip(SKIP_2) | instid1(VALU_DEP_2)
	v_sub_nc_u32_e32 v46, 0x78, v40
	v_cmp_gt_u32_e32 vcc_lo, 0x79, v40
	s_wait_alu 0xfffd
	v_dual_cndmask_b32 v46, 0, v46 :: v_dual_and_b32 v45, 0x7fffff, v41
	s_delay_alu instid0(VALU_DEP_1) | instskip(SKIP_2) | instid1(VALU_DEP_2)
	v_or_b32_e32 v47, 0x800000, v45
	v_cmp_eq_u32_e32 vcc_lo, 0, v40
	s_wait_alu 0xfffd
	v_dual_cndmask_b32 v45, v47, v45 :: v_dual_add_nc_u32 v40, 0xffffff89, v40
	v_cndmask_b32_e64 v46, v46, 0x77, vcc_lo
	s_delay_alu instid0(VALU_DEP_2) | instskip(NEXT) | instid1(VALU_DEP_2)
	v_cndmask_b32_e64 v40, v40, 0xffffff8a, vcc_lo
	v_lshrrev_b32_e32 v48, v46, v45
	v_lshl_add_u32 v47, 0x100000, v46, -1
	v_lshlrev_b32_e64 v50, v46, 0x80000
	s_delay_alu instid0(VALU_DEP_4) | instskip(NEXT) | instid1(VALU_DEP_4)
	v_add_nc_u32_e32 v46, v46, v40
	v_bfe_u32 v49, v48, 20, 1
	s_delay_alu instid0(VALU_DEP_4) | instskip(NEXT) | instid1(VALU_DEP_2)
	v_and_b32_e32 v45, v47, v45
	v_add_nc_u32_e32 v47, -1, v49
	s_delay_alu instid0(VALU_DEP_2) | instskip(SKIP_1) | instid1(VALU_DEP_1)
	v_cmp_eq_u32_e64 s0, v45, v50
	s_wait_alu 0xf1ff
	v_cndmask_b32_e64 v45, 0, v47, s0
	v_lshrrev_b32_e32 v47, 23, v48
	s_mov_b32 s0, exec_lo
	s_delay_alu instid0(VALU_DEP_2) | instskip(NEXT) | instid1(VALU_DEP_2)
	v_add_nc_u32_e32 v45, v45, v48
	v_xor_b32_e32 v47, 1, v47
	s_delay_alu instid0(VALU_DEP_2) | instskip(NEXT) | instid1(VALU_DEP_1)
	v_and_b32_e32 v40, 0xfffff, v45
	v_add_nc_u32_e32 v45, v40, v48
                                        ; implicit-def: $vgpr40
	s_delay_alu instid0(VALU_DEP_3)
	v_cmpx_ne_u32_e64 v46, v47
	s_wait_alu 0xfffe
	s_xor_b32 s0, exec_lo, s0
; %bb.653:
	s_delay_alu instid0(VALU_DEP_2) | instskip(SKIP_3) | instid1(VALU_DEP_2)
	v_cmp_lt_u32_e32 vcc_lo, 0xffffff, v45
	v_sub_nc_u32_e32 v40, v46, v47
	s_wait_alu 0xfffd
	v_cndmask_b32_e64 v46, 0, 1, vcc_lo
	v_add_co_ci_u32_e64 v40, null, 0, v40, vcc_lo
	s_delay_alu instid0(VALU_DEP_2)
	v_lshrrev_b32_e32 v45, v46, v45
; %bb.654:
	s_wait_alu 0xfffe
	s_and_not1_saveexec_b32 s0, s0
; %bb.655:
	s_delay_alu instid0(VALU_DEP_1)
	v_bfe_u32 v40, v45, 23, 1
; %bb.656:
	s_wait_alu 0xfffe
	s_or_b32 exec_lo, exec_lo, s0
	v_lshrrev_b32_e32 v45, 20, v45
	s_delay_alu instid0(VALU_DEP_2) | instskip(SKIP_3) | instid1(VALU_DEP_2)
	v_cmp_gt_i32_e32 vcc_lo, 16, v40
	v_min_i32_e32 v46, 15, v40
	v_lshrrev_b32_e32 v41, 24, v41
	s_wait_alu 0xfffd
	v_dual_cndmask_b32 v45, 7, v45 :: v_dual_lshlrev_b32 v46, 3, v46
	s_delay_alu instid0(VALU_DEP_2) | instskip(NEXT) | instid1(VALU_DEP_2)
	v_and_b32_e32 v41, 0x80, v41
	v_or_b32_e32 v40, v40, v45
	v_and_b32_e32 v47, 7, v45
	s_delay_alu instid0(VALU_DEP_2) | instskip(SKIP_1) | instid1(VALU_DEP_1)
	v_cmp_ne_u32_e32 vcc_lo, 0, v40
	v_and_b32_e32 v46, 0xf8, v46
	v_or3_b32 v41, v41, v46, v47
	s_delay_alu instid0(VALU_DEP_1) | instskip(SKIP_1) | instid1(VALU_DEP_1)
	v_lshlrev_b32_e32 v41, 8, v41
	s_wait_alu 0xfffd
	v_cndmask_b32_e32 v45, 0, v41, vcc_lo
.LBB3_657:
	s_wait_alu 0xfffe
	s_or_b32 exec_lo, exec_lo, s6
.LBB3_658:
	s_delay_alu instid0(SALU_CYCLE_1) | instskip(SKIP_3) | instid1(VALU_DEP_2)
	s_or_b32 exec_lo, exec_lo, s2
	v_and_b32_e32 v40, 0x7f800000, v42
	v_mov_b32_e32 v46, 0x800000
	s_mov_b32 s2, exec_lo
	v_cmpx_ne_u32_e32 0x7f800000, v40
	s_cbranch_execz .LBB3_666
; %bb.659:
	v_mov_b32_e32 v46, 0
	s_mov_b32 s6, exec_lo
	v_cmpx_ne_u32_e32 0, v42
	s_cbranch_execz .LBB3_665
; %bb.660:
	v_bfe_u32 v40, v42, 23, 8
	v_and_b32_e32 v41, 0x7fffff, v42
	s_delay_alu instid0(VALU_DEP_2) | instskip(SKIP_1) | instid1(VALU_DEP_3)
	v_sub_nc_u32_e32 v46, 0x78, v40
	v_cmp_gt_u32_e32 vcc_lo, 0x79, v40
	v_or_b32_e32 v47, 0x800000, v41
	s_wait_alu 0xfffd
	s_delay_alu instid0(VALU_DEP_3) | instskip(SKIP_3) | instid1(VALU_DEP_3)
	v_cndmask_b32_e32 v46, 0, v46, vcc_lo
	v_cmp_eq_u32_e32 vcc_lo, 0, v40
	s_wait_alu 0xfffd
	v_dual_cndmask_b32 v41, v47, v41 :: v_dual_add_nc_u32 v40, 0xffffff89, v40
	v_cndmask_b32_e64 v46, v46, 0x77, vcc_lo
	s_delay_alu instid0(VALU_DEP_2) | instskip(NEXT) | instid1(VALU_DEP_2)
	v_cndmask_b32_e64 v40, v40, 0xffffff8a, vcc_lo
	v_lshrrev_b32_e32 v48, v46, v41
	v_lshl_add_u32 v47, 0x100000, v46, -1
	v_lshlrev_b32_e64 v50, v46, 0x80000
	s_delay_alu instid0(VALU_DEP_4) | instskip(NEXT) | instid1(VALU_DEP_4)
	v_add_nc_u32_e32 v46, v46, v40
	v_bfe_u32 v49, v48, 20, 1
	s_delay_alu instid0(VALU_DEP_4) | instskip(NEXT) | instid1(VALU_DEP_2)
	v_and_b32_e32 v41, v47, v41
	v_add_nc_u32_e32 v47, -1, v49
	s_delay_alu instid0(VALU_DEP_2) | instskip(SKIP_1) | instid1(VALU_DEP_1)
	v_cmp_eq_u32_e64 s0, v41, v50
	s_wait_alu 0xf1ff
	v_cndmask_b32_e64 v41, 0, v47, s0
	v_lshrrev_b32_e32 v47, 23, v48
	s_mov_b32 s0, exec_lo
	s_delay_alu instid0(VALU_DEP_2) | instskip(NEXT) | instid1(VALU_DEP_2)
	v_add_nc_u32_e32 v41, v41, v48
	v_xor_b32_e32 v47, 1, v47
	s_delay_alu instid0(VALU_DEP_2) | instskip(NEXT) | instid1(VALU_DEP_1)
	v_and_b32_e32 v40, 0xfffff, v41
	v_add_nc_u32_e32 v41, v40, v48
                                        ; implicit-def: $vgpr40
	s_delay_alu instid0(VALU_DEP_3)
	v_cmpx_ne_u32_e64 v46, v47
	s_wait_alu 0xfffe
	s_xor_b32 s0, exec_lo, s0
; %bb.661:
	s_delay_alu instid0(VALU_DEP_2) | instskip(SKIP_3) | instid1(VALU_DEP_2)
	v_cmp_lt_u32_e32 vcc_lo, 0xffffff, v41
	v_sub_nc_u32_e32 v40, v46, v47
	s_wait_alu 0xfffd
	v_cndmask_b32_e64 v46, 0, 1, vcc_lo
	v_add_co_ci_u32_e64 v40, null, 0, v40, vcc_lo
	s_delay_alu instid0(VALU_DEP_2)
	v_lshrrev_b32_e32 v41, v46, v41
; %bb.662:
	s_wait_alu 0xfffe
	s_and_not1_saveexec_b32 s0, s0
; %bb.663:
	s_delay_alu instid0(VALU_DEP_1)
	v_bfe_u32 v40, v41, 23, 1
; %bb.664:
	s_wait_alu 0xfffe
	s_or_b32 exec_lo, exec_lo, s0
	v_lshrrev_b32_e32 v41, 20, v41
	s_delay_alu instid0(VALU_DEP_2) | instskip(SKIP_3) | instid1(VALU_DEP_3)
	v_min_i32_e32 v46, 15, v40
	v_cmp_gt_i32_e32 vcc_lo, 16, v40
	v_lshrrev_b32_e32 v42, 24, v42
	s_wait_alu 0xfffd
	v_dual_cndmask_b32 v41, 7, v41 :: v_dual_lshlrev_b32 v46, 3, v46
	s_delay_alu instid0(VALU_DEP_2) | instskip(NEXT) | instid1(VALU_DEP_2)
	v_and_b32_e32 v42, 0x80, v42
	v_and_b32_e32 v46, 0xf8, v46
	s_delay_alu instid0(VALU_DEP_3) | instskip(SKIP_1) | instid1(VALU_DEP_2)
	v_and_b32_e32 v47, 7, v41
	v_or_b32_e32 v40, v40, v41
	v_or3_b32 v42, v42, v46, v47
	s_delay_alu instid0(VALU_DEP_2) | instskip(NEXT) | instid1(VALU_DEP_2)
	v_cmp_ne_u32_e32 vcc_lo, 0, v40
	v_lshlrev_b32_e32 v41, 16, v42
	s_wait_alu 0xfffd
	s_delay_alu instid0(VALU_DEP_1)
	v_cndmask_b32_e32 v46, 0, v41, vcc_lo
.LBB3_665:
	s_wait_alu 0xfffe
	s_or_b32 exec_lo, exec_lo, s6
.LBB3_666:
	s_delay_alu instid0(SALU_CYCLE_1) | instskip(SKIP_4) | instid1(VALU_DEP_3)
	s_or_b32 exec_lo, exec_lo, s2
	v_and_b32_e32 v40, 0x7f800000, v43
	v_add_nc_u32_e32 v47, 64, v60
	v_bfrev_b32_e32 v48, 1
	s_mov_b32 s2, exec_lo
	v_cmpx_ne_u32_e32 0x7f800000, v40
	s_cbranch_execz .LBB3_674
; %bb.667:
	v_mov_b32_e32 v48, 0
	s_mov_b32 s6, exec_lo
	v_cmpx_ne_u32_e32 0, v43
	s_cbranch_execz .LBB3_673
; %bb.668:
	v_bfe_u32 v40, v43, 23, 8
	s_delay_alu instid0(VALU_DEP_1) | instskip(SKIP_2) | instid1(VALU_DEP_2)
	v_sub_nc_u32_e32 v42, 0x78, v40
	v_cmp_gt_u32_e32 vcc_lo, 0x79, v40
	s_wait_alu 0xfffd
	v_dual_cndmask_b32 v42, 0, v42 :: v_dual_and_b32 v41, 0x7fffff, v43
	s_delay_alu instid0(VALU_DEP_1)
	v_or_b32_e32 v48, 0x800000, v41
	v_cmp_eq_u32_e32 vcc_lo, 0, v40
	v_add_nc_u32_e32 v40, 0xffffff89, v40
	s_wait_alu 0xfffd
	v_cndmask_b32_e64 v42, v42, 0x77, vcc_lo
	v_cndmask_b32_e32 v41, v48, v41, vcc_lo
	s_delay_alu instid0(VALU_DEP_3) | instskip(NEXT) | instid1(VALU_DEP_3)
	v_cndmask_b32_e64 v40, v40, 0xffffff8a, vcc_lo
	v_lshl_add_u32 v48, 0x100000, v42, -1
	s_delay_alu instid0(VALU_DEP_3) | instskip(SKIP_1) | instid1(VALU_DEP_4)
	v_lshrrev_b32_e32 v49, v42, v41
	v_lshlrev_b32_e64 v51, v42, 0x80000
	v_add_nc_u32_e32 v42, v42, v40
	s_delay_alu instid0(VALU_DEP_4) | instskip(NEXT) | instid1(VALU_DEP_4)
	v_and_b32_e32 v41, v48, v41
	v_bfe_u32 v50, v49, 20, 1
	s_delay_alu instid0(VALU_DEP_2) | instskip(NEXT) | instid1(VALU_DEP_2)
	v_cmp_eq_u32_e64 s0, v41, v51
	v_add_nc_u32_e32 v48, -1, v50
	s_wait_alu 0xf1ff
	s_delay_alu instid0(VALU_DEP_1) | instskip(SKIP_2) | instid1(VALU_DEP_2)
	v_cndmask_b32_e64 v41, 0, v48, s0
	v_lshrrev_b32_e32 v48, 23, v49
	s_mov_b32 s0, exec_lo
	v_add_nc_u32_e32 v41, v41, v49
	s_delay_alu instid0(VALU_DEP_2) | instskip(NEXT) | instid1(VALU_DEP_2)
	v_xor_b32_e32 v48, 1, v48
	v_and_b32_e32 v40, 0xfffff, v41
	s_delay_alu instid0(VALU_DEP_1) | instskip(NEXT) | instid1(VALU_DEP_3)
	v_add_nc_u32_e32 v41, v40, v49
                                        ; implicit-def: $vgpr40
	v_cmpx_ne_u32_e64 v42, v48
	s_wait_alu 0xfffe
	s_xor_b32 s0, exec_lo, s0
; %bb.669:
	s_delay_alu instid0(VALU_DEP_2) | instskip(SKIP_3) | instid1(VALU_DEP_2)
	v_cmp_lt_u32_e32 vcc_lo, 0xffffff, v41
	v_sub_nc_u32_e32 v40, v42, v48
	s_wait_alu 0xfffd
	v_cndmask_b32_e64 v42, 0, 1, vcc_lo
	v_add_co_ci_u32_e64 v40, null, 0, v40, vcc_lo
	s_delay_alu instid0(VALU_DEP_2)
	v_lshrrev_b32_e32 v41, v42, v41
; %bb.670:
	s_wait_alu 0xfffe
	s_and_not1_saveexec_b32 s0, s0
; %bb.671:
	s_delay_alu instid0(VALU_DEP_1)
	v_bfe_u32 v40, v41, 23, 1
; %bb.672:
	s_wait_alu 0xfffe
	s_or_b32 exec_lo, exec_lo, s0
	v_lshrrev_b32_e32 v41, 20, v41
	s_delay_alu instid0(VALU_DEP_2) | instskip(SKIP_3) | instid1(VALU_DEP_2)
	v_cmp_gt_i32_e32 vcc_lo, 16, v40
	v_lshrrev_b32_e32 v42, 24, v43
	v_min_i32_e32 v43, 15, v40
	s_wait_alu 0xfffd
	v_dual_cndmask_b32 v41, 7, v41 :: v_dual_and_b32 v42, 0x80, v42
	s_delay_alu instid0(VALU_DEP_1) | instskip(SKIP_1) | instid1(VALU_DEP_2)
	v_or_b32_e32 v40, v40, v41
	v_and_b32_e32 v48, 7, v41
	v_cmp_ne_u32_e32 vcc_lo, 0, v40
	v_lshlrev_b32_e32 v43, 3, v43
	s_delay_alu instid0(VALU_DEP_1) | instskip(NEXT) | instid1(VALU_DEP_1)
	v_or3_b32 v42, v42, v43, v48
	v_lshlrev_b32_e32 v41, 24, v42
	s_wait_alu 0xfffd
	s_delay_alu instid0(VALU_DEP_1)
	v_cndmask_b32_e32 v48, 0, v41, vcc_lo
.LBB3_673:
	s_wait_alu 0xfffe
	s_or_b32 exec_lo, exec_lo, s6
.LBB3_674:
	s_delay_alu instid0(SALU_CYCLE_1)
	s_or_b32 exec_lo, exec_lo, s2
	ds_load_b128 v[40:43], v208 offset:16
	v_or_b32_e32 v45, v45, v44
	v_add_nc_u32_e32 v44, s4, v47
	v_wmma_f32_16x16x16_fp8_fp8 v[32:39], v[164:165], v[136:137], v[32:39]
	s_mov_b32 s0, s14
	s_mov_b32 s2, s5
	v_or3_b32 v46, v46, v45, v48
	v_mov_b32_e32 v45, 0x80
	buffer_store_b32 v46, v44, s[0:3], null offen
	s_mov_b32 s2, exec_lo
	s_wait_dscnt 0x0
	v_and_b32_e32 v49, 0x7f800000, v40
	s_delay_alu instid0(VALU_DEP_1)
	v_cmpx_ne_u32_e32 0x7f800000, v49
	s_cbranch_execz .LBB3_682
; %bb.675:
	v_mov_b32_e32 v45, 0
	s_mov_b32 s6, exec_lo
	v_cmpx_ne_u32_e32 0, v40
	s_cbranch_execz .LBB3_681
; %bb.676:
	v_bfe_u32 v45, v40, 23, 8
	s_delay_alu instid0(VALU_DEP_1) | instskip(SKIP_2) | instid1(VALU_DEP_2)
	v_sub_nc_u32_e32 v47, 0x78, v45
	v_cmp_gt_u32_e32 vcc_lo, 0x79, v45
	s_wait_alu 0xfffd
	v_dual_cndmask_b32 v47, 0, v47 :: v_dual_and_b32 v46, 0x7fffff, v40
	s_delay_alu instid0(VALU_DEP_1) | instskip(SKIP_2) | instid1(VALU_DEP_2)
	v_or_b32_e32 v48, 0x800000, v46
	v_cmp_eq_u32_e32 vcc_lo, 0, v45
	s_wait_alu 0xfffd
	v_dual_cndmask_b32 v46, v48, v46 :: v_dual_add_nc_u32 v45, 0xffffff89, v45
	v_cndmask_b32_e64 v47, v47, 0x77, vcc_lo
	s_delay_alu instid0(VALU_DEP_2) | instskip(NEXT) | instid1(VALU_DEP_2)
	v_cndmask_b32_e64 v45, v45, 0xffffff8a, vcc_lo
	v_lshrrev_b32_e32 v49, v47, v46
	v_lshl_add_u32 v48, 0x100000, v47, -1
	v_lshlrev_b32_e64 v51, v47, 0x80000
	s_delay_alu instid0(VALU_DEP_4) | instskip(NEXT) | instid1(VALU_DEP_4)
	v_add_nc_u32_e32 v47, v47, v45
	v_bfe_u32 v50, v49, 20, 1
	s_delay_alu instid0(VALU_DEP_4) | instskip(NEXT) | instid1(VALU_DEP_2)
	v_and_b32_e32 v46, v48, v46
	v_add_nc_u32_e32 v48, -1, v50
	s_delay_alu instid0(VALU_DEP_2) | instskip(SKIP_1) | instid1(VALU_DEP_1)
	v_cmp_eq_u32_e64 s0, v46, v51
	s_wait_alu 0xf1ff
	v_cndmask_b32_e64 v46, 0, v48, s0
	v_lshrrev_b32_e32 v48, 23, v49
	s_mov_b32 s0, exec_lo
	s_delay_alu instid0(VALU_DEP_2) | instskip(NEXT) | instid1(VALU_DEP_2)
	v_add_nc_u32_e32 v46, v46, v49
	v_xor_b32_e32 v48, 1, v48
	s_delay_alu instid0(VALU_DEP_2) | instskip(NEXT) | instid1(VALU_DEP_1)
	v_and_b32_e32 v45, 0xfffff, v46
	v_add_nc_u32_e32 v46, v45, v49
                                        ; implicit-def: $vgpr45
	s_delay_alu instid0(VALU_DEP_3)
	v_cmpx_ne_u32_e64 v47, v48
	s_wait_alu 0xfffe
	s_xor_b32 s0, exec_lo, s0
; %bb.677:
	s_delay_alu instid0(VALU_DEP_2) | instskip(SKIP_3) | instid1(VALU_DEP_2)
	v_cmp_lt_u32_e32 vcc_lo, 0xffffff, v46
	v_sub_nc_u32_e32 v45, v47, v48
	s_wait_alu 0xfffd
	v_cndmask_b32_e64 v47, 0, 1, vcc_lo
	v_add_co_ci_u32_e64 v45, null, 0, v45, vcc_lo
	s_delay_alu instid0(VALU_DEP_2)
	v_lshrrev_b32_e32 v46, v47, v46
; %bb.678:
	s_wait_alu 0xfffe
	s_and_not1_saveexec_b32 s0, s0
; %bb.679:
	s_delay_alu instid0(VALU_DEP_1)
	v_bfe_u32 v45, v46, 23, 1
; %bb.680:
	s_wait_alu 0xfffe
	s_or_b32 exec_lo, exec_lo, s0
	v_lshrrev_b32_e32 v46, 20, v46
	s_delay_alu instid0(VALU_DEP_2) | instskip(SKIP_3) | instid1(VALU_DEP_2)
	v_cmp_gt_i32_e32 vcc_lo, 16, v45
	v_min_i32_e32 v47, 15, v45
	v_lshrrev_b32_e32 v40, 24, v40
	s_wait_alu 0xfffd
	v_dual_cndmask_b32 v46, 7, v46 :: v_dual_lshlrev_b32 v47, 3, v47
	s_delay_alu instid0(VALU_DEP_2) | instskip(NEXT) | instid1(VALU_DEP_2)
	v_and_b32_e32 v40, 0x80, v40
	v_or_b32_e32 v45, v45, v46
	s_delay_alu instid0(VALU_DEP_3) | instskip(NEXT) | instid1(VALU_DEP_2)
	v_and_b32_e32 v47, 0xf8, v47
	v_cmp_ne_u32_e32 vcc_lo, 0, v45
	v_and_b32_e32 v48, 7, v46
	s_delay_alu instid0(VALU_DEP_1) | instskip(SKIP_1) | instid1(VALU_DEP_1)
	v_or3_b32 v40, v47, v40, v48
	s_wait_alu 0xfffd
	v_cndmask_b32_e32 v45, 0, v40, vcc_lo
.LBB3_681:
	s_wait_alu 0xfffe
	s_or_b32 exec_lo, exec_lo, s6
.LBB3_682:
	s_delay_alu instid0(SALU_CYCLE_1) | instskip(SKIP_2) | instid1(VALU_DEP_2)
	s_or_b32 exec_lo, exec_lo, s2
	v_and_b32_e32 v40, 0x7f800000, v41
	v_wmma_f32_16x16x16_fp8_fp8 v[32:39], v[166:167], v[138:139], v[32:39]
	v_cmp_ne_u32_e32 vcc_lo, 0x7f800000, v40
	v_mov_b32_e32 v40, 0x8000
	s_and_saveexec_b32 s2, vcc_lo
	s_cbranch_execz .LBB3_690
; %bb.683:
	v_mov_b32_e32 v40, 0
	s_mov_b32 s6, exec_lo
	v_cmpx_ne_u32_e32 0, v41
	s_cbranch_execz .LBB3_689
; %bb.684:
	v_bfe_u32 v40, v41, 23, 8
	s_delay_alu instid0(VALU_DEP_1) | instskip(SKIP_2) | instid1(VALU_DEP_2)
	v_sub_nc_u32_e32 v47, 0x78, v40
	v_cmp_gt_u32_e32 vcc_lo, 0x79, v40
	s_wait_alu 0xfffd
	v_dual_cndmask_b32 v47, 0, v47 :: v_dual_and_b32 v46, 0x7fffff, v41
	s_delay_alu instid0(VALU_DEP_1) | instskip(SKIP_4) | instid1(VALU_DEP_2)
	v_or_b32_e32 v48, 0x800000, v46
	v_cmp_eq_u32_e32 vcc_lo, 0, v40
	v_add_nc_u32_e32 v40, 0xffffff89, v40
	s_wait_alu 0xfffd
	v_cndmask_b32_e64 v47, v47, 0x77, vcc_lo
	v_cndmask_b32_e64 v40, v40, 0xffffff8a, vcc_lo
	v_cndmask_b32_e32 v46, v48, v46, vcc_lo
	s_delay_alu instid0(VALU_DEP_3) | instskip(SKIP_1) | instid1(VALU_DEP_3)
	v_lshl_add_u32 v48, 0x100000, v47, -1
	v_lshlrev_b32_e64 v51, v47, 0x80000
	v_lshrrev_b32_e32 v49, v47, v46
	v_add_nc_u32_e32 v47, v47, v40
	s_delay_alu instid0(VALU_DEP_4) | instskip(NEXT) | instid1(VALU_DEP_3)
	v_and_b32_e32 v46, v48, v46
	v_bfe_u32 v50, v49, 20, 1
	s_delay_alu instid0(VALU_DEP_2) | instskip(NEXT) | instid1(VALU_DEP_2)
	v_cmp_eq_u32_e64 s0, v46, v51
	v_add_nc_u32_e32 v48, -1, v50
	s_wait_alu 0xf1ff
	s_delay_alu instid0(VALU_DEP_1) | instskip(SKIP_2) | instid1(VALU_DEP_2)
	v_cndmask_b32_e64 v46, 0, v48, s0
	v_lshrrev_b32_e32 v48, 23, v49
	s_mov_b32 s0, exec_lo
	v_add_nc_u32_e32 v46, v46, v49
	s_delay_alu instid0(VALU_DEP_2) | instskip(NEXT) | instid1(VALU_DEP_2)
	v_xor_b32_e32 v48, 1, v48
	v_and_b32_e32 v40, 0xfffff, v46
	s_delay_alu instid0(VALU_DEP_1) | instskip(NEXT) | instid1(VALU_DEP_3)
	v_add_nc_u32_e32 v46, v40, v49
                                        ; implicit-def: $vgpr40
	v_cmpx_ne_u32_e64 v47, v48
	s_wait_alu 0xfffe
	s_xor_b32 s0, exec_lo, s0
; %bb.685:
	s_delay_alu instid0(VALU_DEP_2) | instskip(SKIP_3) | instid1(VALU_DEP_2)
	v_cmp_lt_u32_e32 vcc_lo, 0xffffff, v46
	v_sub_nc_u32_e32 v40, v47, v48
	s_wait_alu 0xfffd
	v_cndmask_b32_e64 v47, 0, 1, vcc_lo
	v_add_co_ci_u32_e64 v40, null, 0, v40, vcc_lo
	s_delay_alu instid0(VALU_DEP_2)
	v_lshrrev_b32_e32 v46, v47, v46
; %bb.686:
	s_wait_alu 0xfffe
	s_and_not1_saveexec_b32 s0, s0
; %bb.687:
	s_delay_alu instid0(VALU_DEP_1)
	v_bfe_u32 v40, v46, 23, 1
; %bb.688:
	s_wait_alu 0xfffe
	s_or_b32 exec_lo, exec_lo, s0
	v_lshrrev_b32_e32 v46, 20, v46
	s_delay_alu instid0(VALU_DEP_2) | instskip(SKIP_3) | instid1(VALU_DEP_2)
	v_cmp_gt_i32_e32 vcc_lo, 16, v40
	v_min_i32_e32 v47, 15, v40
	v_lshrrev_b32_e32 v41, 24, v41
	s_wait_alu 0xfffd
	v_dual_cndmask_b32 v46, 7, v46 :: v_dual_lshlrev_b32 v47, 3, v47
	s_delay_alu instid0(VALU_DEP_2) | instskip(NEXT) | instid1(VALU_DEP_2)
	v_and_b32_e32 v41, 0x80, v41
	v_or_b32_e32 v40, v40, v46
	v_and_b32_e32 v48, 7, v46
	s_delay_alu instid0(VALU_DEP_2) | instskip(SKIP_1) | instid1(VALU_DEP_1)
	v_cmp_ne_u32_e32 vcc_lo, 0, v40
	v_and_b32_e32 v47, 0xf8, v47
	v_or3_b32 v41, v41, v47, v48
	s_delay_alu instid0(VALU_DEP_1) | instskip(SKIP_1) | instid1(VALU_DEP_1)
	v_lshlrev_b32_e32 v41, 8, v41
	s_wait_alu 0xfffd
	v_cndmask_b32_e32 v40, 0, v41, vcc_lo
.LBB3_689:
	s_wait_alu 0xfffe
	s_or_b32 exec_lo, exec_lo, s6
.LBB3_690:
	s_delay_alu instid0(SALU_CYCLE_1) | instskip(SKIP_2) | instid1(VALU_DEP_2)
	s_or_b32 exec_lo, exec_lo, s2
	v_and_b32_e32 v41, 0x7f800000, v42
	v_wmma_f32_16x16x16_fp8_fp8 v[32:39], v[160:161], v[128:129], v[32:39]
	v_cmp_ne_u32_e32 vcc_lo, 0x7f800000, v41
	v_mov_b32_e32 v41, 0x800000
	s_and_saveexec_b32 s2, vcc_lo
	s_cbranch_execz .LBB3_698
; %bb.691:
	v_mov_b32_e32 v41, 0
	s_mov_b32 s6, exec_lo
	v_cmpx_ne_u32_e32 0, v42
	s_cbranch_execz .LBB3_697
; %bb.692:
	v_bfe_u32 v41, v42, 23, 8
	s_delay_alu instid0(VALU_DEP_1) | instskip(SKIP_2) | instid1(VALU_DEP_2)
	v_sub_nc_u32_e32 v47, 0x78, v41
	v_cmp_gt_u32_e32 vcc_lo, 0x79, v41
	s_wait_alu 0xfffd
	v_dual_cndmask_b32 v47, 0, v47 :: v_dual_and_b32 v46, 0x7fffff, v42
	s_delay_alu instid0(VALU_DEP_1) | instskip(SKIP_2) | instid1(VALU_DEP_2)
	v_or_b32_e32 v48, 0x800000, v46
	v_cmp_eq_u32_e32 vcc_lo, 0, v41
	s_wait_alu 0xfffd
	v_dual_cndmask_b32 v46, v48, v46 :: v_dual_add_nc_u32 v41, 0xffffff89, v41
	v_cndmask_b32_e64 v47, v47, 0x77, vcc_lo
	s_delay_alu instid0(VALU_DEP_2) | instskip(NEXT) | instid1(VALU_DEP_2)
	v_cndmask_b32_e64 v41, v41, 0xffffff8a, vcc_lo
	v_lshrrev_b32_e32 v49, v47, v46
	v_lshl_add_u32 v48, 0x100000, v47, -1
	v_lshlrev_b32_e64 v51, v47, 0x80000
	s_delay_alu instid0(VALU_DEP_4) | instskip(NEXT) | instid1(VALU_DEP_4)
	v_add_nc_u32_e32 v47, v47, v41
	v_bfe_u32 v50, v49, 20, 1
	s_delay_alu instid0(VALU_DEP_4) | instskip(NEXT) | instid1(VALU_DEP_2)
	v_and_b32_e32 v46, v48, v46
	v_add_nc_u32_e32 v48, -1, v50
	s_delay_alu instid0(VALU_DEP_2) | instskip(SKIP_1) | instid1(VALU_DEP_1)
	v_cmp_eq_u32_e64 s0, v46, v51
	s_wait_alu 0xf1ff
	v_cndmask_b32_e64 v46, 0, v48, s0
	v_lshrrev_b32_e32 v48, 23, v49
	s_mov_b32 s0, exec_lo
	s_delay_alu instid0(VALU_DEP_2) | instskip(NEXT) | instid1(VALU_DEP_2)
	v_add_nc_u32_e32 v46, v46, v49
	v_xor_b32_e32 v48, 1, v48
	s_delay_alu instid0(VALU_DEP_2) | instskip(NEXT) | instid1(VALU_DEP_1)
	v_and_b32_e32 v41, 0xfffff, v46
	v_add_nc_u32_e32 v46, v41, v49
                                        ; implicit-def: $vgpr41
	s_delay_alu instid0(VALU_DEP_3)
	v_cmpx_ne_u32_e64 v47, v48
	s_wait_alu 0xfffe
	s_xor_b32 s0, exec_lo, s0
; %bb.693:
	s_delay_alu instid0(VALU_DEP_2) | instskip(SKIP_3) | instid1(VALU_DEP_2)
	v_cmp_lt_u32_e32 vcc_lo, 0xffffff, v46
	v_sub_nc_u32_e32 v41, v47, v48
	s_wait_alu 0xfffd
	v_cndmask_b32_e64 v47, 0, 1, vcc_lo
	v_add_co_ci_u32_e64 v41, null, 0, v41, vcc_lo
	s_delay_alu instid0(VALU_DEP_2)
	v_lshrrev_b32_e32 v46, v47, v46
; %bb.694:
	s_wait_alu 0xfffe
	s_and_not1_saveexec_b32 s0, s0
; %bb.695:
	s_delay_alu instid0(VALU_DEP_1)
	v_bfe_u32 v41, v46, 23, 1
; %bb.696:
	s_wait_alu 0xfffe
	s_or_b32 exec_lo, exec_lo, s0
	v_lshrrev_b32_e32 v46, 20, v46
	s_delay_alu instid0(VALU_DEP_2) | instskip(SKIP_3) | instid1(VALU_DEP_3)
	v_min_i32_e32 v47, 15, v41
	v_cmp_gt_i32_e32 vcc_lo, 16, v41
	v_lshrrev_b32_e32 v42, 24, v42
	s_wait_alu 0xfffd
	v_dual_cndmask_b32 v46, 7, v46 :: v_dual_lshlrev_b32 v47, 3, v47
	s_delay_alu instid0(VALU_DEP_2) | instskip(NEXT) | instid1(VALU_DEP_2)
	v_and_b32_e32 v42, 0x80, v42
	v_and_b32_e32 v47, 0xf8, v47
	s_delay_alu instid0(VALU_DEP_3) | instskip(SKIP_1) | instid1(VALU_DEP_2)
	v_and_b32_e32 v48, 7, v46
	v_or_b32_e32 v41, v41, v46
	v_or3_b32 v42, v42, v47, v48
	s_delay_alu instid0(VALU_DEP_2) | instskip(NEXT) | instid1(VALU_DEP_2)
	v_cmp_ne_u32_e32 vcc_lo, 0, v41
	v_lshlrev_b32_e32 v42, 16, v42
	s_wait_alu 0xfffd
	s_delay_alu instid0(VALU_DEP_1)
	v_cndmask_b32_e32 v41, 0, v42, vcc_lo
.LBB3_697:
	s_wait_alu 0xfffe
	s_or_b32 exec_lo, exec_lo, s6
.LBB3_698:
	s_delay_alu instid0(SALU_CYCLE_1) | instskip(SKIP_2) | instid1(VALU_DEP_2)
	s_or_b32 exec_lo, exec_lo, s2
	v_and_b32_e32 v42, 0x7f800000, v43
	v_wmma_f32_16x16x16_fp8_fp8 v[32:39], v[162:163], v[130:131], v[32:39]
	v_cmp_ne_u32_e32 vcc_lo, 0x7f800000, v42
	v_bfrev_b32_e32 v42, 1
	s_and_saveexec_b32 s2, vcc_lo
	s_cbranch_execz .LBB3_706
; %bb.699:
	v_mov_b32_e32 v42, 0
	s_mov_b32 s6, exec_lo
	v_cmpx_ne_u32_e32 0, v43
	s_cbranch_execz .LBB3_705
; %bb.700:
	v_bfe_u32 v42, v43, 23, 8
	v_and_b32_e32 v46, 0x7fffff, v43
	s_delay_alu instid0(VALU_DEP_2) | instskip(SKIP_1) | instid1(VALU_DEP_3)
	v_sub_nc_u32_e32 v47, 0x78, v42
	v_cmp_gt_u32_e32 vcc_lo, 0x79, v42
	v_or_b32_e32 v48, 0x800000, v46
	s_wait_alu 0xfffd
	s_delay_alu instid0(VALU_DEP_3)
	v_cndmask_b32_e32 v47, 0, v47, vcc_lo
	v_cmp_eq_u32_e32 vcc_lo, 0, v42
	v_add_nc_u32_e32 v42, 0xffffff89, v42
	s_wait_alu 0xfffd
	v_cndmask_b32_e32 v46, v48, v46, vcc_lo
	v_cndmask_b32_e64 v47, v47, 0x77, vcc_lo
	s_delay_alu instid0(VALU_DEP_3) | instskip(NEXT) | instid1(VALU_DEP_2)
	v_cndmask_b32_e64 v42, v42, 0xffffff8a, vcc_lo
	v_lshrrev_b32_e32 v49, v47, v46
	v_lshl_add_u32 v48, 0x100000, v47, -1
	v_lshlrev_b32_e64 v51, v47, 0x80000
	s_delay_alu instid0(VALU_DEP_4) | instskip(NEXT) | instid1(VALU_DEP_4)
	v_add_nc_u32_e32 v47, v47, v42
	v_bfe_u32 v50, v49, 20, 1
	s_delay_alu instid0(VALU_DEP_4) | instskip(NEXT) | instid1(VALU_DEP_2)
	v_and_b32_e32 v46, v48, v46
	v_add_nc_u32_e32 v48, -1, v50
	s_delay_alu instid0(VALU_DEP_2) | instskip(SKIP_1) | instid1(VALU_DEP_1)
	v_cmp_eq_u32_e64 s0, v46, v51
	s_wait_alu 0xf1ff
	v_cndmask_b32_e64 v46, 0, v48, s0
	v_lshrrev_b32_e32 v48, 23, v49
	s_mov_b32 s0, exec_lo
	s_delay_alu instid0(VALU_DEP_2) | instskip(NEXT) | instid1(VALU_DEP_2)
	v_add_nc_u32_e32 v46, v46, v49
	v_xor_b32_e32 v48, 1, v48
	s_delay_alu instid0(VALU_DEP_2) | instskip(NEXT) | instid1(VALU_DEP_1)
	v_and_b32_e32 v42, 0xfffff, v46
	v_add_nc_u32_e32 v46, v42, v49
                                        ; implicit-def: $vgpr42
	s_delay_alu instid0(VALU_DEP_3)
	v_cmpx_ne_u32_e64 v47, v48
	s_wait_alu 0xfffe
	s_xor_b32 s0, exec_lo, s0
; %bb.701:
	s_delay_alu instid0(VALU_DEP_2) | instskip(SKIP_3) | instid1(VALU_DEP_2)
	v_cmp_lt_u32_e32 vcc_lo, 0xffffff, v46
	v_sub_nc_u32_e32 v42, v47, v48
	s_wait_alu 0xfffd
	v_cndmask_b32_e64 v47, 0, 1, vcc_lo
	v_add_co_ci_u32_e64 v42, null, 0, v42, vcc_lo
	s_delay_alu instid0(VALU_DEP_2)
	v_lshrrev_b32_e32 v46, v47, v46
; %bb.702:
	s_wait_alu 0xfffe
	s_and_not1_saveexec_b32 s0, s0
; %bb.703:
	s_delay_alu instid0(VALU_DEP_1)
	v_bfe_u32 v42, v46, 23, 1
; %bb.704:
	s_wait_alu 0xfffe
	s_or_b32 exec_lo, exec_lo, s0
	v_lshrrev_b32_e32 v46, 20, v46
	s_delay_alu instid0(VALU_DEP_2) | instskip(SKIP_3) | instid1(VALU_DEP_2)
	v_cmp_gt_i32_e32 vcc_lo, 16, v42
	v_lshrrev_b32_e32 v43, 24, v43
	v_min_i32_e32 v47, 15, v42
	s_wait_alu 0xfffd
	v_dual_cndmask_b32 v46, 7, v46 :: v_dual_and_b32 v43, 0x80, v43
	s_delay_alu instid0(VALU_DEP_2) | instskip(NEXT) | instid1(VALU_DEP_2)
	v_lshlrev_b32_e32 v47, 3, v47
	v_and_b32_e32 v48, 7, v46
	v_or_b32_e32 v42, v42, v46
	s_delay_alu instid0(VALU_DEP_2) | instskip(NEXT) | instid1(VALU_DEP_2)
	v_or3_b32 v43, v43, v47, v48
	v_cmp_ne_u32_e32 vcc_lo, 0, v42
	s_delay_alu instid0(VALU_DEP_2) | instskip(SKIP_1) | instid1(VALU_DEP_1)
	v_lshlrev_b32_e32 v43, 24, v43
	s_wait_alu 0xfffd
	v_cndmask_b32_e32 v42, 0, v43, vcc_lo
.LBB3_705:
	s_wait_alu 0xfffe
	s_or_b32 exec_lo, exec_lo, s6
.LBB3_706:
	s_delay_alu instid0(SALU_CYCLE_1) | instskip(SKIP_3) | instid1(VALU_DEP_1)
	s_or_b32 exec_lo, exec_lo, s2
	v_or_b32_e32 v40, v40, v45
	s_mov_b32 s0, s14
	s_mov_b32 s2, s5
	v_or3_b32 v40, v41, v40, v42
	buffer_store_b32 v40, v44, s[0:3], null offen offset:4
	s_wait_dscnt 0x0
	s_barrier_signal -1
	s_barrier_wait -1
	ds_store_2addr_stride64_b32 v209, v32, v33 offset1:1
	ds_store_2addr_stride64_b32 v209, v34, v35 offset0:2 offset1:3
	ds_store_2addr_stride64_b32 v209, v36, v37 offset0:4 offset1:5
	;; [unrolled: 1-line block ×3, first 2 shown]
	s_wait_dscnt 0x0
	s_barrier_signal -1
	s_barrier_wait -1
	ds_load_b128 v[32:35], v208
	s_wait_dscnt 0x0
	v_and_b32_e32 v36, 0x7f800000, v32
	s_delay_alu instid0(VALU_DEP_1)
	v_cmp_ne_u32_e32 vcc_lo, 0x7f800000, v36
	v_mov_b32_e32 v36, 0x80
	s_and_saveexec_b32 s2, vcc_lo
	s_cbranch_execz .LBB3_714
; %bb.707:
	v_mov_b32_e32 v36, 0
	s_mov_b32 s6, exec_lo
	v_cmpx_ne_u32_e32 0, v32
	s_cbranch_execz .LBB3_713
; %bb.708:
	v_bfe_u32 v36, v32, 23, 8
	s_delay_alu instid0(VALU_DEP_1) | instskip(SKIP_2) | instid1(VALU_DEP_2)
	v_sub_nc_u32_e32 v38, 0x78, v36
	v_cmp_gt_u32_e32 vcc_lo, 0x79, v36
	s_wait_alu 0xfffd
	v_dual_cndmask_b32 v38, 0, v38 :: v_dual_and_b32 v37, 0x7fffff, v32
	s_delay_alu instid0(VALU_DEP_1) | instskip(SKIP_2) | instid1(VALU_DEP_2)
	v_or_b32_e32 v39, 0x800000, v37
	v_cmp_eq_u32_e32 vcc_lo, 0, v36
	s_wait_alu 0xfffd
	v_dual_cndmask_b32 v37, v39, v37 :: v_dual_add_nc_u32 v36, 0xffffff89, v36
	v_cndmask_b32_e64 v38, v38, 0x77, vcc_lo
	s_delay_alu instid0(VALU_DEP_2) | instskip(NEXT) | instid1(VALU_DEP_2)
	v_cndmask_b32_e64 v36, v36, 0xffffff8a, vcc_lo
	v_lshrrev_b32_e32 v40, v38, v37
	v_lshl_add_u32 v39, 0x100000, v38, -1
	v_lshlrev_b32_e64 v42, v38, 0x80000
	s_delay_alu instid0(VALU_DEP_4) | instskip(NEXT) | instid1(VALU_DEP_4)
	v_add_nc_u32_e32 v38, v38, v36
	v_bfe_u32 v41, v40, 20, 1
	s_delay_alu instid0(VALU_DEP_4) | instskip(NEXT) | instid1(VALU_DEP_2)
	v_and_b32_e32 v37, v39, v37
	v_add_nc_u32_e32 v39, -1, v41
	s_delay_alu instid0(VALU_DEP_2) | instskip(SKIP_1) | instid1(VALU_DEP_1)
	v_cmp_eq_u32_e64 s0, v37, v42
	s_wait_alu 0xf1ff
	v_cndmask_b32_e64 v37, 0, v39, s0
	v_lshrrev_b32_e32 v39, 23, v40
	s_mov_b32 s0, exec_lo
	s_delay_alu instid0(VALU_DEP_2) | instskip(NEXT) | instid1(VALU_DEP_2)
	v_add_nc_u32_e32 v37, v37, v40
	v_xor_b32_e32 v39, 1, v39
	s_delay_alu instid0(VALU_DEP_2) | instskip(NEXT) | instid1(VALU_DEP_1)
	v_and_b32_e32 v36, 0xfffff, v37
	v_add_nc_u32_e32 v37, v36, v40
                                        ; implicit-def: $vgpr36
	s_delay_alu instid0(VALU_DEP_3)
	v_cmpx_ne_u32_e64 v38, v39
	s_wait_alu 0xfffe
	s_xor_b32 s0, exec_lo, s0
; %bb.709:
	s_delay_alu instid0(VALU_DEP_2) | instskip(SKIP_3) | instid1(VALU_DEP_2)
	v_cmp_lt_u32_e32 vcc_lo, 0xffffff, v37
	v_sub_nc_u32_e32 v36, v38, v39
	s_wait_alu 0xfffd
	v_cndmask_b32_e64 v38, 0, 1, vcc_lo
	v_add_co_ci_u32_e64 v36, null, 0, v36, vcc_lo
	s_delay_alu instid0(VALU_DEP_2)
	v_lshrrev_b32_e32 v37, v38, v37
; %bb.710:
	s_wait_alu 0xfffe
	s_and_not1_saveexec_b32 s0, s0
; %bb.711:
	s_delay_alu instid0(VALU_DEP_1)
	v_bfe_u32 v36, v37, 23, 1
; %bb.712:
	s_wait_alu 0xfffe
	s_or_b32 exec_lo, exec_lo, s0
	v_lshrrev_b32_e32 v37, 20, v37
	s_delay_alu instid0(VALU_DEP_2) | instskip(SKIP_3) | instid1(VALU_DEP_2)
	v_cmp_gt_i32_e32 vcc_lo, 16, v36
	v_min_i32_e32 v38, 15, v36
	v_lshrrev_b32_e32 v32, 24, v32
	s_wait_alu 0xfffd
	v_dual_cndmask_b32 v37, 7, v37 :: v_dual_lshlrev_b32 v38, 3, v38
	s_delay_alu instid0(VALU_DEP_2) | instskip(NEXT) | instid1(VALU_DEP_2)
	v_and_b32_e32 v32, 0x80, v32
	v_or_b32_e32 v36, v36, v37
	s_delay_alu instid0(VALU_DEP_3) | instskip(NEXT) | instid1(VALU_DEP_2)
	v_and_b32_e32 v38, 0xf8, v38
	v_cmp_ne_u32_e32 vcc_lo, 0, v36
	v_and_b32_e32 v39, 7, v37
	s_delay_alu instid0(VALU_DEP_1) | instskip(SKIP_1) | instid1(VALU_DEP_1)
	v_or3_b32 v32, v38, v32, v39
	s_wait_alu 0xfffd
	v_cndmask_b32_e32 v36, 0, v32, vcc_lo
.LBB3_713:
	s_wait_alu 0xfffe
	s_or_b32 exec_lo, exec_lo, s6
.LBB3_714:
	s_delay_alu instid0(SALU_CYCLE_1) | instskip(SKIP_3) | instid1(VALU_DEP_2)
	s_or_b32 exec_lo, exec_lo, s2
	v_and_b32_e32 v32, 0x7f800000, v33
	v_mov_b32_e32 v37, 0x8000
	s_mov_b32 s2, exec_lo
	v_cmpx_ne_u32_e32 0x7f800000, v32
	s_cbranch_execz .LBB3_722
; %bb.715:
	v_mov_b32_e32 v37, 0
	s_mov_b32 s6, exec_lo
	v_cmpx_ne_u32_e32 0, v33
	s_cbranch_execz .LBB3_721
; %bb.716:
	v_bfe_u32 v32, v33, 23, 8
	s_delay_alu instid0(VALU_DEP_1) | instskip(SKIP_2) | instid1(VALU_DEP_2)
	v_sub_nc_u32_e32 v38, 0x78, v32
	v_cmp_gt_u32_e32 vcc_lo, 0x79, v32
	s_wait_alu 0xfffd
	v_dual_cndmask_b32 v38, 0, v38 :: v_dual_and_b32 v37, 0x7fffff, v33
	s_delay_alu instid0(VALU_DEP_1) | instskip(SKIP_2) | instid1(VALU_DEP_2)
	v_or_b32_e32 v39, 0x800000, v37
	v_cmp_eq_u32_e32 vcc_lo, 0, v32
	s_wait_alu 0xfffd
	v_dual_cndmask_b32 v37, v39, v37 :: v_dual_add_nc_u32 v32, 0xffffff89, v32
	v_cndmask_b32_e64 v38, v38, 0x77, vcc_lo
	s_delay_alu instid0(VALU_DEP_2) | instskip(NEXT) | instid1(VALU_DEP_2)
	v_cndmask_b32_e64 v32, v32, 0xffffff8a, vcc_lo
	v_lshrrev_b32_e32 v40, v38, v37
	v_lshl_add_u32 v39, 0x100000, v38, -1
	v_lshlrev_b32_e64 v42, v38, 0x80000
	s_delay_alu instid0(VALU_DEP_4) | instskip(NEXT) | instid1(VALU_DEP_4)
	v_add_nc_u32_e32 v38, v38, v32
	v_bfe_u32 v41, v40, 20, 1
	s_delay_alu instid0(VALU_DEP_4) | instskip(NEXT) | instid1(VALU_DEP_2)
	v_and_b32_e32 v37, v39, v37
	v_add_nc_u32_e32 v39, -1, v41
	s_delay_alu instid0(VALU_DEP_2) | instskip(SKIP_1) | instid1(VALU_DEP_1)
	v_cmp_eq_u32_e64 s0, v37, v42
	s_wait_alu 0xf1ff
	v_cndmask_b32_e64 v37, 0, v39, s0
	v_lshrrev_b32_e32 v39, 23, v40
	s_mov_b32 s0, exec_lo
	s_delay_alu instid0(VALU_DEP_2) | instskip(NEXT) | instid1(VALU_DEP_2)
	v_add_nc_u32_e32 v37, v37, v40
	v_xor_b32_e32 v39, 1, v39
	s_delay_alu instid0(VALU_DEP_2) | instskip(NEXT) | instid1(VALU_DEP_1)
	v_and_b32_e32 v32, 0xfffff, v37
	v_add_nc_u32_e32 v37, v32, v40
                                        ; implicit-def: $vgpr32
	s_delay_alu instid0(VALU_DEP_3)
	v_cmpx_ne_u32_e64 v38, v39
	s_wait_alu 0xfffe
	s_xor_b32 s0, exec_lo, s0
; %bb.717:
	s_delay_alu instid0(VALU_DEP_2) | instskip(SKIP_3) | instid1(VALU_DEP_2)
	v_cmp_lt_u32_e32 vcc_lo, 0xffffff, v37
	v_sub_nc_u32_e32 v32, v38, v39
	s_wait_alu 0xfffd
	v_cndmask_b32_e64 v38, 0, 1, vcc_lo
	v_add_co_ci_u32_e64 v32, null, 0, v32, vcc_lo
	s_delay_alu instid0(VALU_DEP_2)
	v_lshrrev_b32_e32 v37, v38, v37
; %bb.718:
	s_wait_alu 0xfffe
	s_and_not1_saveexec_b32 s0, s0
; %bb.719:
	s_delay_alu instid0(VALU_DEP_1)
	v_bfe_u32 v32, v37, 23, 1
; %bb.720:
	s_wait_alu 0xfffe
	s_or_b32 exec_lo, exec_lo, s0
	v_lshrrev_b32_e32 v37, 20, v37
	s_delay_alu instid0(VALU_DEP_2) | instskip(SKIP_3) | instid1(VALU_DEP_2)
	v_cmp_gt_i32_e32 vcc_lo, 16, v32
	v_min_i32_e32 v38, 15, v32
	v_lshrrev_b32_e32 v33, 24, v33
	s_wait_alu 0xfffd
	v_dual_cndmask_b32 v37, 7, v37 :: v_dual_lshlrev_b32 v38, 3, v38
	s_delay_alu instid0(VALU_DEP_2) | instskip(NEXT) | instid1(VALU_DEP_2)
	v_and_b32_e32 v33, 0x80, v33
	v_or_b32_e32 v32, v32, v37
	v_and_b32_e32 v39, 7, v37
	s_delay_alu instid0(VALU_DEP_2) | instskip(SKIP_1) | instid1(VALU_DEP_1)
	v_cmp_ne_u32_e32 vcc_lo, 0, v32
	v_and_b32_e32 v38, 0xf8, v38
	v_or3_b32 v33, v33, v38, v39
	s_delay_alu instid0(VALU_DEP_1) | instskip(SKIP_1) | instid1(VALU_DEP_1)
	v_lshlrev_b32_e32 v33, 8, v33
	s_wait_alu 0xfffd
	v_cndmask_b32_e32 v37, 0, v33, vcc_lo
.LBB3_721:
	s_wait_alu 0xfffe
	s_or_b32 exec_lo, exec_lo, s6
.LBB3_722:
	s_delay_alu instid0(SALU_CYCLE_1) | instskip(SKIP_3) | instid1(VALU_DEP_2)
	s_or_b32 exec_lo, exec_lo, s2
	v_and_b32_e32 v32, 0x7f800000, v34
	v_mov_b32_e32 v38, 0x800000
	s_mov_b32 s2, exec_lo
	v_cmpx_ne_u32_e32 0x7f800000, v32
	s_cbranch_execz .LBB3_730
; %bb.723:
	v_mov_b32_e32 v38, 0
	s_mov_b32 s6, exec_lo
	v_cmpx_ne_u32_e32 0, v34
	s_cbranch_execz .LBB3_729
; %bb.724:
	v_bfe_u32 v32, v34, 23, 8
	v_and_b32_e32 v33, 0x7fffff, v34
	s_delay_alu instid0(VALU_DEP_2) | instskip(SKIP_1) | instid1(VALU_DEP_3)
	v_sub_nc_u32_e32 v38, 0x78, v32
	v_cmp_gt_u32_e32 vcc_lo, 0x79, v32
	v_or_b32_e32 v39, 0x800000, v33
	s_wait_alu 0xfffd
	s_delay_alu instid0(VALU_DEP_3) | instskip(SKIP_3) | instid1(VALU_DEP_3)
	v_cndmask_b32_e32 v38, 0, v38, vcc_lo
	v_cmp_eq_u32_e32 vcc_lo, 0, v32
	s_wait_alu 0xfffd
	v_dual_cndmask_b32 v33, v39, v33 :: v_dual_add_nc_u32 v32, 0xffffff89, v32
	v_cndmask_b32_e64 v38, v38, 0x77, vcc_lo
	s_delay_alu instid0(VALU_DEP_2) | instskip(NEXT) | instid1(VALU_DEP_2)
	v_cndmask_b32_e64 v32, v32, 0xffffff8a, vcc_lo
	v_lshrrev_b32_e32 v40, v38, v33
	v_lshl_add_u32 v39, 0x100000, v38, -1
	v_lshlrev_b32_e64 v42, v38, 0x80000
	s_delay_alu instid0(VALU_DEP_4) | instskip(NEXT) | instid1(VALU_DEP_4)
	v_add_nc_u32_e32 v38, v38, v32
	v_bfe_u32 v41, v40, 20, 1
	s_delay_alu instid0(VALU_DEP_4) | instskip(NEXT) | instid1(VALU_DEP_2)
	v_and_b32_e32 v33, v39, v33
	v_add_nc_u32_e32 v39, -1, v41
	s_delay_alu instid0(VALU_DEP_2) | instskip(SKIP_1) | instid1(VALU_DEP_1)
	v_cmp_eq_u32_e64 s0, v33, v42
	s_wait_alu 0xf1ff
	v_cndmask_b32_e64 v33, 0, v39, s0
	v_lshrrev_b32_e32 v39, 23, v40
	s_mov_b32 s0, exec_lo
	s_delay_alu instid0(VALU_DEP_2) | instskip(NEXT) | instid1(VALU_DEP_2)
	v_add_nc_u32_e32 v33, v33, v40
	v_xor_b32_e32 v39, 1, v39
	s_delay_alu instid0(VALU_DEP_2) | instskip(NEXT) | instid1(VALU_DEP_1)
	v_and_b32_e32 v32, 0xfffff, v33
	v_add_nc_u32_e32 v33, v32, v40
                                        ; implicit-def: $vgpr32
	s_delay_alu instid0(VALU_DEP_3)
	v_cmpx_ne_u32_e64 v38, v39
	s_wait_alu 0xfffe
	s_xor_b32 s0, exec_lo, s0
; %bb.725:
	s_delay_alu instid0(VALU_DEP_2) | instskip(SKIP_3) | instid1(VALU_DEP_2)
	v_cmp_lt_u32_e32 vcc_lo, 0xffffff, v33
	v_sub_nc_u32_e32 v32, v38, v39
	s_wait_alu 0xfffd
	v_cndmask_b32_e64 v38, 0, 1, vcc_lo
	v_add_co_ci_u32_e64 v32, null, 0, v32, vcc_lo
	s_delay_alu instid0(VALU_DEP_2)
	v_lshrrev_b32_e32 v33, v38, v33
; %bb.726:
	s_wait_alu 0xfffe
	s_and_not1_saveexec_b32 s0, s0
; %bb.727:
	s_delay_alu instid0(VALU_DEP_1)
	v_bfe_u32 v32, v33, 23, 1
; %bb.728:
	s_wait_alu 0xfffe
	s_or_b32 exec_lo, exec_lo, s0
	v_lshrrev_b32_e32 v33, 20, v33
	s_delay_alu instid0(VALU_DEP_2) | instskip(SKIP_3) | instid1(VALU_DEP_3)
	v_min_i32_e32 v38, 15, v32
	v_cmp_gt_i32_e32 vcc_lo, 16, v32
	v_lshrrev_b32_e32 v34, 24, v34
	s_wait_alu 0xfffd
	v_dual_cndmask_b32 v33, 7, v33 :: v_dual_lshlrev_b32 v38, 3, v38
	s_delay_alu instid0(VALU_DEP_2) | instskip(NEXT) | instid1(VALU_DEP_2)
	v_and_b32_e32 v34, 0x80, v34
	v_and_b32_e32 v38, 0xf8, v38
	s_delay_alu instid0(VALU_DEP_3) | instskip(SKIP_1) | instid1(VALU_DEP_2)
	v_and_b32_e32 v39, 7, v33
	v_or_b32_e32 v32, v32, v33
	v_or3_b32 v34, v34, v38, v39
	s_delay_alu instid0(VALU_DEP_2) | instskip(NEXT) | instid1(VALU_DEP_2)
	v_cmp_ne_u32_e32 vcc_lo, 0, v32
	v_lshlrev_b32_e32 v33, 16, v34
	s_wait_alu 0xfffd
	s_delay_alu instid0(VALU_DEP_1)
	v_cndmask_b32_e32 v38, 0, v33, vcc_lo
.LBB3_729:
	s_wait_alu 0xfffe
	s_or_b32 exec_lo, exec_lo, s6
.LBB3_730:
	s_delay_alu instid0(SALU_CYCLE_1) | instskip(SKIP_3) | instid1(VALU_DEP_2)
	s_or_b32 exec_lo, exec_lo, s2
	v_and_b32_e32 v32, 0x7f800000, v35
	v_bfrev_b32_e32 v39, 1
	s_mov_b32 s2, exec_lo
	v_cmpx_ne_u32_e32 0x7f800000, v32
	s_cbranch_execz .LBB3_738
; %bb.731:
	v_mov_b32_e32 v39, 0
	s_mov_b32 s6, exec_lo
	v_cmpx_ne_u32_e32 0, v35
	s_cbranch_execz .LBB3_737
; %bb.732:
	v_bfe_u32 v32, v35, 23, 8
	s_delay_alu instid0(VALU_DEP_1) | instskip(SKIP_2) | instid1(VALU_DEP_2)
	v_sub_nc_u32_e32 v34, 0x78, v32
	v_cmp_gt_u32_e32 vcc_lo, 0x79, v32
	s_wait_alu 0xfffd
	v_dual_cndmask_b32 v34, 0, v34 :: v_dual_and_b32 v33, 0x7fffff, v35
	s_delay_alu instid0(VALU_DEP_1) | instskip(SKIP_2) | instid1(VALU_DEP_2)
	v_or_b32_e32 v39, 0x800000, v33
	v_cmp_eq_u32_e32 vcc_lo, 0, v32
	s_wait_alu 0xfffd
	v_dual_cndmask_b32 v33, v39, v33 :: v_dual_add_nc_u32 v32, 0xffffff89, v32
	v_cndmask_b32_e64 v34, v34, 0x77, vcc_lo
	s_delay_alu instid0(VALU_DEP_2) | instskip(NEXT) | instid1(VALU_DEP_2)
	v_cndmask_b32_e64 v32, v32, 0xffffff8a, vcc_lo
	v_lshrrev_b32_e32 v40, v34, v33
	v_lshl_add_u32 v39, 0x100000, v34, -1
	v_lshlrev_b32_e64 v42, v34, 0x80000
	s_delay_alu instid0(VALU_DEP_4) | instskip(NEXT) | instid1(VALU_DEP_4)
	v_add_nc_u32_e32 v34, v34, v32
	v_bfe_u32 v41, v40, 20, 1
	s_delay_alu instid0(VALU_DEP_4) | instskip(NEXT) | instid1(VALU_DEP_2)
	v_and_b32_e32 v33, v39, v33
	v_add_nc_u32_e32 v39, -1, v41
	s_delay_alu instid0(VALU_DEP_2) | instskip(SKIP_1) | instid1(VALU_DEP_1)
	v_cmp_eq_u32_e64 s0, v33, v42
	s_wait_alu 0xf1ff
	v_cndmask_b32_e64 v33, 0, v39, s0
	v_lshrrev_b32_e32 v39, 23, v40
	s_mov_b32 s0, exec_lo
	s_delay_alu instid0(VALU_DEP_2) | instskip(NEXT) | instid1(VALU_DEP_2)
	v_add_nc_u32_e32 v33, v33, v40
	v_xor_b32_e32 v39, 1, v39
	s_delay_alu instid0(VALU_DEP_2) | instskip(NEXT) | instid1(VALU_DEP_1)
	v_and_b32_e32 v32, 0xfffff, v33
	v_add_nc_u32_e32 v33, v32, v40
                                        ; implicit-def: $vgpr32
	s_delay_alu instid0(VALU_DEP_3)
	v_cmpx_ne_u32_e64 v34, v39
	s_wait_alu 0xfffe
	s_xor_b32 s0, exec_lo, s0
; %bb.733:
	s_delay_alu instid0(VALU_DEP_2) | instskip(SKIP_3) | instid1(VALU_DEP_2)
	v_cmp_lt_u32_e32 vcc_lo, 0xffffff, v33
	v_sub_nc_u32_e32 v32, v34, v39
	s_wait_alu 0xfffd
	v_cndmask_b32_e64 v34, 0, 1, vcc_lo
	v_add_co_ci_u32_e64 v32, null, 0, v32, vcc_lo
	s_delay_alu instid0(VALU_DEP_2)
	v_lshrrev_b32_e32 v33, v34, v33
; %bb.734:
	s_wait_alu 0xfffe
	s_and_not1_saveexec_b32 s0, s0
; %bb.735:
	s_delay_alu instid0(VALU_DEP_1)
	v_bfe_u32 v32, v33, 23, 1
; %bb.736:
	s_wait_alu 0xfffe
	s_or_b32 exec_lo, exec_lo, s0
	v_lshrrev_b32_e32 v33, 20, v33
	s_delay_alu instid0(VALU_DEP_2) | instskip(SKIP_3) | instid1(VALU_DEP_2)
	v_cmp_gt_i32_e32 vcc_lo, 16, v32
	v_lshrrev_b32_e32 v34, 24, v35
	v_min_i32_e32 v35, 15, v32
	s_wait_alu 0xfffd
	v_dual_cndmask_b32 v33, 7, v33 :: v_dual_and_b32 v34, 0x80, v34
	s_delay_alu instid0(VALU_DEP_2) | instskip(NEXT) | instid1(VALU_DEP_2)
	v_lshlrev_b32_e32 v35, 3, v35
	v_and_b32_e32 v39, 7, v33
	v_or_b32_e32 v32, v32, v33
	s_delay_alu instid0(VALU_DEP_2) | instskip(NEXT) | instid1(VALU_DEP_2)
	v_or3_b32 v34, v34, v35, v39
	v_cmp_ne_u32_e32 vcc_lo, 0, v32
	s_delay_alu instid0(VALU_DEP_2) | instskip(SKIP_1) | instid1(VALU_DEP_1)
	v_lshlrev_b32_e32 v33, 24, v34
	s_wait_alu 0xfffd
	v_cndmask_b32_e32 v39, 0, v33, vcc_lo
.LBB3_737:
	s_wait_alu 0xfffe
	s_or_b32 exec_lo, exec_lo, s6
.LBB3_738:
	s_delay_alu instid0(SALU_CYCLE_1)
	s_or_b32 exec_lo, exec_lo, s2
	ds_load_b128 v[32:35], v208 offset:16
	v_or_b32_e32 v37, v37, v36
	v_add_nc_u32_e32 v36, s4, v60
	v_wmma_f32_16x16x16_fp8_fp8 v[24:31], v[156:157], v[136:137], v[24:31]
	s_mov_b32 s0, s14
	s_mov_b32 s2, s5
	v_or3_b32 v38, v38, v37, v39
	v_mov_b32_e32 v37, 0x80
	buffer_store_b32 v38, v36, s[0:3], null offen
	s_mov_b32 s2, exec_lo
	s_wait_dscnt 0x0
	v_and_b32_e32 v40, 0x7f800000, v32
	s_delay_alu instid0(VALU_DEP_1)
	v_cmpx_ne_u32_e32 0x7f800000, v40
	s_cbranch_execz .LBB3_746
; %bb.739:
	v_mov_b32_e32 v37, 0
	s_mov_b32 s6, exec_lo
	v_cmpx_ne_u32_e32 0, v32
	s_cbranch_execz .LBB3_745
; %bb.740:
	v_bfe_u32 v37, v32, 23, 8
	s_delay_alu instid0(VALU_DEP_1) | instskip(SKIP_2) | instid1(VALU_DEP_2)
	v_sub_nc_u32_e32 v39, 0x78, v37
	v_cmp_gt_u32_e32 vcc_lo, 0x79, v37
	s_wait_alu 0xfffd
	v_dual_cndmask_b32 v39, 0, v39 :: v_dual_and_b32 v38, 0x7fffff, v32
	s_delay_alu instid0(VALU_DEP_1) | instskip(SKIP_2) | instid1(VALU_DEP_2)
	v_or_b32_e32 v40, 0x800000, v38
	v_cmp_eq_u32_e32 vcc_lo, 0, v37
	s_wait_alu 0xfffd
	v_dual_cndmask_b32 v38, v40, v38 :: v_dual_add_nc_u32 v37, 0xffffff89, v37
	v_cndmask_b32_e64 v39, v39, 0x77, vcc_lo
	s_delay_alu instid0(VALU_DEP_2) | instskip(NEXT) | instid1(VALU_DEP_2)
	v_cndmask_b32_e64 v37, v37, 0xffffff8a, vcc_lo
	v_lshrrev_b32_e32 v41, v39, v38
	v_lshl_add_u32 v40, 0x100000, v39, -1
	v_lshlrev_b32_e64 v43, v39, 0x80000
	s_delay_alu instid0(VALU_DEP_4) | instskip(NEXT) | instid1(VALU_DEP_4)
	v_add_nc_u32_e32 v39, v39, v37
	v_bfe_u32 v42, v41, 20, 1
	s_delay_alu instid0(VALU_DEP_4) | instskip(NEXT) | instid1(VALU_DEP_2)
	v_and_b32_e32 v38, v40, v38
	v_add_nc_u32_e32 v40, -1, v42
	s_delay_alu instid0(VALU_DEP_2) | instskip(SKIP_1) | instid1(VALU_DEP_1)
	v_cmp_eq_u32_e64 s0, v38, v43
	s_wait_alu 0xf1ff
	v_cndmask_b32_e64 v38, 0, v40, s0
	v_lshrrev_b32_e32 v40, 23, v41
	s_mov_b32 s0, exec_lo
	s_delay_alu instid0(VALU_DEP_2) | instskip(NEXT) | instid1(VALU_DEP_2)
	v_add_nc_u32_e32 v38, v38, v41
	v_xor_b32_e32 v40, 1, v40
	s_delay_alu instid0(VALU_DEP_2) | instskip(NEXT) | instid1(VALU_DEP_1)
	v_and_b32_e32 v37, 0xfffff, v38
	v_add_nc_u32_e32 v38, v37, v41
                                        ; implicit-def: $vgpr37
	s_delay_alu instid0(VALU_DEP_3)
	v_cmpx_ne_u32_e64 v39, v40
	s_wait_alu 0xfffe
	s_xor_b32 s0, exec_lo, s0
; %bb.741:
	s_delay_alu instid0(VALU_DEP_2) | instskip(SKIP_3) | instid1(VALU_DEP_2)
	v_cmp_lt_u32_e32 vcc_lo, 0xffffff, v38
	v_sub_nc_u32_e32 v37, v39, v40
	s_wait_alu 0xfffd
	v_cndmask_b32_e64 v39, 0, 1, vcc_lo
	v_add_co_ci_u32_e64 v37, null, 0, v37, vcc_lo
	s_delay_alu instid0(VALU_DEP_2)
	v_lshrrev_b32_e32 v38, v39, v38
; %bb.742:
	s_wait_alu 0xfffe
	s_and_not1_saveexec_b32 s0, s0
; %bb.743:
	s_delay_alu instid0(VALU_DEP_1)
	v_bfe_u32 v37, v38, 23, 1
; %bb.744:
	s_wait_alu 0xfffe
	s_or_b32 exec_lo, exec_lo, s0
	v_lshrrev_b32_e32 v38, 20, v38
	s_delay_alu instid0(VALU_DEP_2) | instskip(SKIP_3) | instid1(VALU_DEP_2)
	v_cmp_gt_i32_e32 vcc_lo, 16, v37
	v_min_i32_e32 v39, 15, v37
	v_lshrrev_b32_e32 v32, 24, v32
	s_wait_alu 0xfffd
	v_dual_cndmask_b32 v38, 7, v38 :: v_dual_lshlrev_b32 v39, 3, v39
	s_delay_alu instid0(VALU_DEP_2) | instskip(NEXT) | instid1(VALU_DEP_2)
	v_and_b32_e32 v32, 0x80, v32
	v_or_b32_e32 v37, v37, v38
	s_delay_alu instid0(VALU_DEP_3) | instskip(NEXT) | instid1(VALU_DEP_2)
	v_and_b32_e32 v39, 0xf8, v39
	v_cmp_ne_u32_e32 vcc_lo, 0, v37
	v_and_b32_e32 v40, 7, v38
	s_delay_alu instid0(VALU_DEP_1) | instskip(SKIP_1) | instid1(VALU_DEP_1)
	v_or3_b32 v32, v39, v32, v40
	s_wait_alu 0xfffd
	v_cndmask_b32_e32 v37, 0, v32, vcc_lo
.LBB3_745:
	s_wait_alu 0xfffe
	s_or_b32 exec_lo, exec_lo, s6
.LBB3_746:
	s_delay_alu instid0(SALU_CYCLE_1) | instskip(SKIP_2) | instid1(VALU_DEP_2)
	s_or_b32 exec_lo, exec_lo, s2
	v_and_b32_e32 v32, 0x7f800000, v33
	v_wmma_f32_16x16x16_fp8_fp8 v[24:31], v[158:159], v[138:139], v[24:31]
	v_cmp_ne_u32_e32 vcc_lo, 0x7f800000, v32
	v_mov_b32_e32 v32, 0x8000
	s_and_saveexec_b32 s2, vcc_lo
	s_cbranch_execz .LBB3_754
; %bb.747:
	v_mov_b32_e32 v32, 0
	s_mov_b32 s6, exec_lo
	v_cmpx_ne_u32_e32 0, v33
	s_cbranch_execz .LBB3_753
; %bb.748:
	v_bfe_u32 v32, v33, 23, 8
	s_delay_alu instid0(VALU_DEP_1) | instskip(SKIP_2) | instid1(VALU_DEP_2)
	v_sub_nc_u32_e32 v39, 0x78, v32
	v_cmp_gt_u32_e32 vcc_lo, 0x79, v32
	s_wait_alu 0xfffd
	v_dual_cndmask_b32 v39, 0, v39 :: v_dual_and_b32 v38, 0x7fffff, v33
	s_delay_alu instid0(VALU_DEP_1) | instskip(SKIP_4) | instid1(VALU_DEP_2)
	v_or_b32_e32 v40, 0x800000, v38
	v_cmp_eq_u32_e32 vcc_lo, 0, v32
	v_add_nc_u32_e32 v32, 0xffffff89, v32
	s_wait_alu 0xfffd
	v_cndmask_b32_e64 v39, v39, 0x77, vcc_lo
	v_cndmask_b32_e64 v32, v32, 0xffffff8a, vcc_lo
	v_cndmask_b32_e32 v38, v40, v38, vcc_lo
	s_delay_alu instid0(VALU_DEP_3) | instskip(SKIP_1) | instid1(VALU_DEP_3)
	v_lshl_add_u32 v40, 0x100000, v39, -1
	v_lshlrev_b32_e64 v43, v39, 0x80000
	v_lshrrev_b32_e32 v41, v39, v38
	v_add_nc_u32_e32 v39, v39, v32
	s_delay_alu instid0(VALU_DEP_4) | instskip(NEXT) | instid1(VALU_DEP_3)
	v_and_b32_e32 v38, v40, v38
	v_bfe_u32 v42, v41, 20, 1
	s_delay_alu instid0(VALU_DEP_2) | instskip(NEXT) | instid1(VALU_DEP_2)
	v_cmp_eq_u32_e64 s0, v38, v43
	v_add_nc_u32_e32 v40, -1, v42
	s_wait_alu 0xf1ff
	s_delay_alu instid0(VALU_DEP_1) | instskip(SKIP_2) | instid1(VALU_DEP_2)
	v_cndmask_b32_e64 v38, 0, v40, s0
	v_lshrrev_b32_e32 v40, 23, v41
	s_mov_b32 s0, exec_lo
	v_add_nc_u32_e32 v38, v38, v41
	s_delay_alu instid0(VALU_DEP_2) | instskip(NEXT) | instid1(VALU_DEP_2)
	v_xor_b32_e32 v40, 1, v40
	v_and_b32_e32 v32, 0xfffff, v38
	s_delay_alu instid0(VALU_DEP_1) | instskip(NEXT) | instid1(VALU_DEP_3)
	v_add_nc_u32_e32 v38, v32, v41
                                        ; implicit-def: $vgpr32
	v_cmpx_ne_u32_e64 v39, v40
	s_wait_alu 0xfffe
	s_xor_b32 s0, exec_lo, s0
; %bb.749:
	s_delay_alu instid0(VALU_DEP_2) | instskip(SKIP_3) | instid1(VALU_DEP_2)
	v_cmp_lt_u32_e32 vcc_lo, 0xffffff, v38
	v_sub_nc_u32_e32 v32, v39, v40
	s_wait_alu 0xfffd
	v_cndmask_b32_e64 v39, 0, 1, vcc_lo
	v_add_co_ci_u32_e64 v32, null, 0, v32, vcc_lo
	s_delay_alu instid0(VALU_DEP_2)
	v_lshrrev_b32_e32 v38, v39, v38
; %bb.750:
	s_wait_alu 0xfffe
	s_and_not1_saveexec_b32 s0, s0
; %bb.751:
	s_delay_alu instid0(VALU_DEP_1)
	v_bfe_u32 v32, v38, 23, 1
; %bb.752:
	s_wait_alu 0xfffe
	s_or_b32 exec_lo, exec_lo, s0
	v_lshrrev_b32_e32 v38, 20, v38
	s_delay_alu instid0(VALU_DEP_2) | instskip(SKIP_3) | instid1(VALU_DEP_2)
	v_cmp_gt_i32_e32 vcc_lo, 16, v32
	v_min_i32_e32 v39, 15, v32
	v_lshrrev_b32_e32 v33, 24, v33
	s_wait_alu 0xfffd
	v_dual_cndmask_b32 v38, 7, v38 :: v_dual_lshlrev_b32 v39, 3, v39
	s_delay_alu instid0(VALU_DEP_2) | instskip(NEXT) | instid1(VALU_DEP_2)
	v_and_b32_e32 v33, 0x80, v33
	v_or_b32_e32 v32, v32, v38
	v_and_b32_e32 v40, 7, v38
	s_delay_alu instid0(VALU_DEP_2) | instskip(SKIP_1) | instid1(VALU_DEP_1)
	v_cmp_ne_u32_e32 vcc_lo, 0, v32
	v_and_b32_e32 v39, 0xf8, v39
	v_or3_b32 v33, v33, v39, v40
	s_delay_alu instid0(VALU_DEP_1) | instskip(SKIP_1) | instid1(VALU_DEP_1)
	v_lshlrev_b32_e32 v33, 8, v33
	s_wait_alu 0xfffd
	v_cndmask_b32_e32 v32, 0, v33, vcc_lo
.LBB3_753:
	s_wait_alu 0xfffe
	s_or_b32 exec_lo, exec_lo, s6
.LBB3_754:
	s_delay_alu instid0(SALU_CYCLE_1) | instskip(SKIP_2) | instid1(VALU_DEP_2)
	s_or_b32 exec_lo, exec_lo, s2
	v_and_b32_e32 v33, 0x7f800000, v34
	v_wmma_f32_16x16x16_fp8_fp8 v[24:31], v[152:153], v[128:129], v[24:31]
	v_cmp_ne_u32_e32 vcc_lo, 0x7f800000, v33
	v_mov_b32_e32 v33, 0x800000
	s_and_saveexec_b32 s2, vcc_lo
	s_cbranch_execz .LBB3_762
; %bb.755:
	v_mov_b32_e32 v33, 0
	s_mov_b32 s6, exec_lo
	v_cmpx_ne_u32_e32 0, v34
	s_cbranch_execz .LBB3_761
; %bb.756:
	v_bfe_u32 v33, v34, 23, 8
	s_delay_alu instid0(VALU_DEP_1) | instskip(SKIP_2) | instid1(VALU_DEP_2)
	v_sub_nc_u32_e32 v39, 0x78, v33
	v_cmp_gt_u32_e32 vcc_lo, 0x79, v33
	s_wait_alu 0xfffd
	v_dual_cndmask_b32 v39, 0, v39 :: v_dual_and_b32 v38, 0x7fffff, v34
	s_delay_alu instid0(VALU_DEP_1) | instskip(SKIP_2) | instid1(VALU_DEP_2)
	v_or_b32_e32 v40, 0x800000, v38
	v_cmp_eq_u32_e32 vcc_lo, 0, v33
	s_wait_alu 0xfffd
	v_dual_cndmask_b32 v38, v40, v38 :: v_dual_add_nc_u32 v33, 0xffffff89, v33
	v_cndmask_b32_e64 v39, v39, 0x77, vcc_lo
	s_delay_alu instid0(VALU_DEP_2) | instskip(NEXT) | instid1(VALU_DEP_2)
	v_cndmask_b32_e64 v33, v33, 0xffffff8a, vcc_lo
	v_lshrrev_b32_e32 v41, v39, v38
	v_lshl_add_u32 v40, 0x100000, v39, -1
	v_lshlrev_b32_e64 v43, v39, 0x80000
	s_delay_alu instid0(VALU_DEP_4) | instskip(NEXT) | instid1(VALU_DEP_4)
	v_add_nc_u32_e32 v39, v39, v33
	v_bfe_u32 v42, v41, 20, 1
	s_delay_alu instid0(VALU_DEP_4) | instskip(NEXT) | instid1(VALU_DEP_2)
	v_and_b32_e32 v38, v40, v38
	v_add_nc_u32_e32 v40, -1, v42
	s_delay_alu instid0(VALU_DEP_2) | instskip(SKIP_1) | instid1(VALU_DEP_1)
	v_cmp_eq_u32_e64 s0, v38, v43
	s_wait_alu 0xf1ff
	v_cndmask_b32_e64 v38, 0, v40, s0
	v_lshrrev_b32_e32 v40, 23, v41
	s_mov_b32 s0, exec_lo
	s_delay_alu instid0(VALU_DEP_2) | instskip(NEXT) | instid1(VALU_DEP_2)
	v_add_nc_u32_e32 v38, v38, v41
	v_xor_b32_e32 v40, 1, v40
	s_delay_alu instid0(VALU_DEP_2) | instskip(NEXT) | instid1(VALU_DEP_1)
	v_and_b32_e32 v33, 0xfffff, v38
	v_add_nc_u32_e32 v38, v33, v41
                                        ; implicit-def: $vgpr33
	s_delay_alu instid0(VALU_DEP_3)
	v_cmpx_ne_u32_e64 v39, v40
	s_wait_alu 0xfffe
	s_xor_b32 s0, exec_lo, s0
; %bb.757:
	s_delay_alu instid0(VALU_DEP_2) | instskip(SKIP_3) | instid1(VALU_DEP_2)
	v_cmp_lt_u32_e32 vcc_lo, 0xffffff, v38
	v_sub_nc_u32_e32 v33, v39, v40
	s_wait_alu 0xfffd
	v_cndmask_b32_e64 v39, 0, 1, vcc_lo
	v_add_co_ci_u32_e64 v33, null, 0, v33, vcc_lo
	s_delay_alu instid0(VALU_DEP_2)
	v_lshrrev_b32_e32 v38, v39, v38
; %bb.758:
	s_wait_alu 0xfffe
	s_and_not1_saveexec_b32 s0, s0
; %bb.759:
	s_delay_alu instid0(VALU_DEP_1)
	v_bfe_u32 v33, v38, 23, 1
; %bb.760:
	s_wait_alu 0xfffe
	s_or_b32 exec_lo, exec_lo, s0
	v_lshrrev_b32_e32 v38, 20, v38
	s_delay_alu instid0(VALU_DEP_2) | instskip(SKIP_3) | instid1(VALU_DEP_3)
	v_min_i32_e32 v39, 15, v33
	v_cmp_gt_i32_e32 vcc_lo, 16, v33
	v_lshrrev_b32_e32 v34, 24, v34
	s_wait_alu 0xfffd
	v_dual_cndmask_b32 v38, 7, v38 :: v_dual_lshlrev_b32 v39, 3, v39
	s_delay_alu instid0(VALU_DEP_2) | instskip(NEXT) | instid1(VALU_DEP_2)
	v_and_b32_e32 v34, 0x80, v34
	v_and_b32_e32 v39, 0xf8, v39
	s_delay_alu instid0(VALU_DEP_3) | instskip(SKIP_1) | instid1(VALU_DEP_2)
	v_and_b32_e32 v40, 7, v38
	v_or_b32_e32 v33, v33, v38
	v_or3_b32 v34, v34, v39, v40
	s_delay_alu instid0(VALU_DEP_2) | instskip(NEXT) | instid1(VALU_DEP_2)
	v_cmp_ne_u32_e32 vcc_lo, 0, v33
	v_lshlrev_b32_e32 v34, 16, v34
	s_wait_alu 0xfffd
	s_delay_alu instid0(VALU_DEP_1)
	v_cndmask_b32_e32 v33, 0, v34, vcc_lo
.LBB3_761:
	s_wait_alu 0xfffe
	s_or_b32 exec_lo, exec_lo, s6
.LBB3_762:
	s_delay_alu instid0(SALU_CYCLE_1) | instskip(SKIP_2) | instid1(VALU_DEP_2)
	s_or_b32 exec_lo, exec_lo, s2
	v_and_b32_e32 v34, 0x7f800000, v35
	v_wmma_f32_16x16x16_fp8_fp8 v[24:31], v[154:155], v[130:131], v[24:31]
	v_cmp_ne_u32_e32 vcc_lo, 0x7f800000, v34
	v_bfrev_b32_e32 v34, 1
	s_and_saveexec_b32 s2, vcc_lo
	s_cbranch_execz .LBB3_770
; %bb.763:
	v_mov_b32_e32 v34, 0
	s_mov_b32 s6, exec_lo
	v_cmpx_ne_u32_e32 0, v35
	s_cbranch_execz .LBB3_769
; %bb.764:
	v_bfe_u32 v34, v35, 23, 8
	v_and_b32_e32 v38, 0x7fffff, v35
	s_delay_alu instid0(VALU_DEP_2) | instskip(SKIP_1) | instid1(VALU_DEP_3)
	v_sub_nc_u32_e32 v39, 0x78, v34
	v_cmp_gt_u32_e32 vcc_lo, 0x79, v34
	v_or_b32_e32 v40, 0x800000, v38
	s_wait_alu 0xfffd
	s_delay_alu instid0(VALU_DEP_3)
	v_cndmask_b32_e32 v39, 0, v39, vcc_lo
	v_cmp_eq_u32_e32 vcc_lo, 0, v34
	v_add_nc_u32_e32 v34, 0xffffff89, v34
	s_wait_alu 0xfffd
	v_cndmask_b32_e32 v38, v40, v38, vcc_lo
	v_cndmask_b32_e64 v39, v39, 0x77, vcc_lo
	s_delay_alu instid0(VALU_DEP_3) | instskip(NEXT) | instid1(VALU_DEP_2)
	v_cndmask_b32_e64 v34, v34, 0xffffff8a, vcc_lo
	v_lshrrev_b32_e32 v41, v39, v38
	v_lshl_add_u32 v40, 0x100000, v39, -1
	v_lshlrev_b32_e64 v43, v39, 0x80000
	s_delay_alu instid0(VALU_DEP_4) | instskip(NEXT) | instid1(VALU_DEP_4)
	v_add_nc_u32_e32 v39, v39, v34
	v_bfe_u32 v42, v41, 20, 1
	s_delay_alu instid0(VALU_DEP_4) | instskip(NEXT) | instid1(VALU_DEP_2)
	v_and_b32_e32 v38, v40, v38
	v_add_nc_u32_e32 v40, -1, v42
	s_delay_alu instid0(VALU_DEP_2) | instskip(SKIP_1) | instid1(VALU_DEP_1)
	v_cmp_eq_u32_e64 s0, v38, v43
	s_wait_alu 0xf1ff
	v_cndmask_b32_e64 v38, 0, v40, s0
	v_lshrrev_b32_e32 v40, 23, v41
	s_mov_b32 s0, exec_lo
	s_delay_alu instid0(VALU_DEP_2) | instskip(NEXT) | instid1(VALU_DEP_2)
	v_add_nc_u32_e32 v38, v38, v41
	v_xor_b32_e32 v40, 1, v40
	s_delay_alu instid0(VALU_DEP_2) | instskip(NEXT) | instid1(VALU_DEP_1)
	v_and_b32_e32 v34, 0xfffff, v38
	v_add_nc_u32_e32 v38, v34, v41
                                        ; implicit-def: $vgpr34
	s_delay_alu instid0(VALU_DEP_3)
	v_cmpx_ne_u32_e64 v39, v40
	s_wait_alu 0xfffe
	s_xor_b32 s0, exec_lo, s0
; %bb.765:
	s_delay_alu instid0(VALU_DEP_2) | instskip(SKIP_3) | instid1(VALU_DEP_2)
	v_cmp_lt_u32_e32 vcc_lo, 0xffffff, v38
	v_sub_nc_u32_e32 v34, v39, v40
	s_wait_alu 0xfffd
	v_cndmask_b32_e64 v39, 0, 1, vcc_lo
	v_add_co_ci_u32_e64 v34, null, 0, v34, vcc_lo
	s_delay_alu instid0(VALU_DEP_2)
	v_lshrrev_b32_e32 v38, v39, v38
; %bb.766:
	s_wait_alu 0xfffe
	s_and_not1_saveexec_b32 s0, s0
; %bb.767:
	s_delay_alu instid0(VALU_DEP_1)
	v_bfe_u32 v34, v38, 23, 1
; %bb.768:
	s_wait_alu 0xfffe
	s_or_b32 exec_lo, exec_lo, s0
	v_lshrrev_b32_e32 v38, 20, v38
	s_delay_alu instid0(VALU_DEP_2) | instskip(SKIP_3) | instid1(VALU_DEP_2)
	v_cmp_gt_i32_e32 vcc_lo, 16, v34
	v_lshrrev_b32_e32 v35, 24, v35
	v_min_i32_e32 v39, 15, v34
	s_wait_alu 0xfffd
	v_dual_cndmask_b32 v38, 7, v38 :: v_dual_and_b32 v35, 0x80, v35
	s_delay_alu instid0(VALU_DEP_2) | instskip(NEXT) | instid1(VALU_DEP_2)
	v_lshlrev_b32_e32 v39, 3, v39
	v_and_b32_e32 v40, 7, v38
	v_or_b32_e32 v34, v34, v38
	s_delay_alu instid0(VALU_DEP_2) | instskip(NEXT) | instid1(VALU_DEP_2)
	v_or3_b32 v35, v35, v39, v40
	v_cmp_ne_u32_e32 vcc_lo, 0, v34
	s_delay_alu instid0(VALU_DEP_2) | instskip(SKIP_1) | instid1(VALU_DEP_1)
	v_lshlrev_b32_e32 v35, 24, v35
	s_wait_alu 0xfffd
	v_cndmask_b32_e32 v34, 0, v35, vcc_lo
.LBB3_769:
	s_wait_alu 0xfffe
	s_or_b32 exec_lo, exec_lo, s6
.LBB3_770:
	s_delay_alu instid0(SALU_CYCLE_1) | instskip(SKIP_3) | instid1(VALU_DEP_1)
	s_or_b32 exec_lo, exec_lo, s2
	v_or_b32_e32 v32, v32, v37
	s_mov_b32 s0, s14
	s_mov_b32 s2, s5
	v_or3_b32 v32, v33, v32, v34
	buffer_store_b32 v32, v36, s[0:3], null offen offset:4
	s_wait_dscnt 0x0
	s_barrier_signal -1
	s_barrier_wait -1
	ds_store_2addr_stride64_b32 v209, v24, v25 offset1:1
	ds_store_2addr_stride64_b32 v209, v26, v27 offset0:2 offset1:3
	ds_store_2addr_stride64_b32 v209, v28, v29 offset0:4 offset1:5
	;; [unrolled: 1-line block ×3, first 2 shown]
	s_wait_dscnt 0x0
	s_barrier_signal -1
	s_barrier_wait -1
	ds_load_b128 v[24:27], v208
	s_wait_dscnt 0x0
	v_and_b32_e32 v28, 0x7f800000, v24
	s_delay_alu instid0(VALU_DEP_1)
	v_cmp_ne_u32_e32 vcc_lo, 0x7f800000, v28
	v_mov_b32_e32 v28, 0x80
	s_and_saveexec_b32 s2, vcc_lo
	s_cbranch_execz .LBB3_778
; %bb.771:
	v_mov_b32_e32 v28, 0
	s_mov_b32 s6, exec_lo
	v_cmpx_ne_u32_e32 0, v24
	s_cbranch_execz .LBB3_777
; %bb.772:
	v_bfe_u32 v28, v24, 23, 8
	s_delay_alu instid0(VALU_DEP_1) | instskip(SKIP_2) | instid1(VALU_DEP_2)
	v_sub_nc_u32_e32 v30, 0x78, v28
	v_cmp_gt_u32_e32 vcc_lo, 0x79, v28
	s_wait_alu 0xfffd
	v_dual_cndmask_b32 v30, 0, v30 :: v_dual_and_b32 v29, 0x7fffff, v24
	s_delay_alu instid0(VALU_DEP_1) | instskip(SKIP_2) | instid1(VALU_DEP_2)
	v_or_b32_e32 v31, 0x800000, v29
	v_cmp_eq_u32_e32 vcc_lo, 0, v28
	s_wait_alu 0xfffd
	v_dual_cndmask_b32 v29, v31, v29 :: v_dual_add_nc_u32 v28, 0xffffff89, v28
	v_cndmask_b32_e64 v30, v30, 0x77, vcc_lo
	s_delay_alu instid0(VALU_DEP_2) | instskip(NEXT) | instid1(VALU_DEP_2)
	v_cndmask_b32_e64 v28, v28, 0xffffff8a, vcc_lo
	v_lshrrev_b32_e32 v32, v30, v29
	v_lshl_add_u32 v31, 0x100000, v30, -1
	v_lshlrev_b32_e64 v34, v30, 0x80000
	s_delay_alu instid0(VALU_DEP_4) | instskip(NEXT) | instid1(VALU_DEP_4)
	v_add_nc_u32_e32 v30, v30, v28
	v_bfe_u32 v33, v32, 20, 1
	s_delay_alu instid0(VALU_DEP_4) | instskip(NEXT) | instid1(VALU_DEP_2)
	v_and_b32_e32 v29, v31, v29
	v_add_nc_u32_e32 v31, -1, v33
	s_delay_alu instid0(VALU_DEP_2) | instskip(SKIP_1) | instid1(VALU_DEP_1)
	v_cmp_eq_u32_e64 s0, v29, v34
	s_wait_alu 0xf1ff
	v_cndmask_b32_e64 v29, 0, v31, s0
	v_lshrrev_b32_e32 v31, 23, v32
	s_mov_b32 s0, exec_lo
	s_delay_alu instid0(VALU_DEP_2) | instskip(NEXT) | instid1(VALU_DEP_2)
	v_add_nc_u32_e32 v29, v29, v32
	v_xor_b32_e32 v31, 1, v31
	s_delay_alu instid0(VALU_DEP_2) | instskip(NEXT) | instid1(VALU_DEP_1)
	v_and_b32_e32 v28, 0xfffff, v29
	v_add_nc_u32_e32 v29, v28, v32
                                        ; implicit-def: $vgpr28
	s_delay_alu instid0(VALU_DEP_3)
	v_cmpx_ne_u32_e64 v30, v31
	s_wait_alu 0xfffe
	s_xor_b32 s0, exec_lo, s0
; %bb.773:
	s_delay_alu instid0(VALU_DEP_2) | instskip(SKIP_3) | instid1(VALU_DEP_2)
	v_cmp_lt_u32_e32 vcc_lo, 0xffffff, v29
	v_sub_nc_u32_e32 v28, v30, v31
	s_wait_alu 0xfffd
	v_cndmask_b32_e64 v30, 0, 1, vcc_lo
	v_add_co_ci_u32_e64 v28, null, 0, v28, vcc_lo
	s_delay_alu instid0(VALU_DEP_2)
	v_lshrrev_b32_e32 v29, v30, v29
; %bb.774:
	s_wait_alu 0xfffe
	s_and_not1_saveexec_b32 s0, s0
; %bb.775:
	s_delay_alu instid0(VALU_DEP_1)
	v_bfe_u32 v28, v29, 23, 1
; %bb.776:
	s_wait_alu 0xfffe
	s_or_b32 exec_lo, exec_lo, s0
	v_lshrrev_b32_e32 v29, 20, v29
	s_delay_alu instid0(VALU_DEP_2) | instskip(SKIP_3) | instid1(VALU_DEP_2)
	v_cmp_gt_i32_e32 vcc_lo, 16, v28
	v_min_i32_e32 v30, 15, v28
	v_lshrrev_b32_e32 v24, 24, v24
	s_wait_alu 0xfffd
	v_dual_cndmask_b32 v29, 7, v29 :: v_dual_lshlrev_b32 v30, 3, v30
	s_delay_alu instid0(VALU_DEP_2) | instskip(NEXT) | instid1(VALU_DEP_2)
	v_and_b32_e32 v24, 0x80, v24
	v_or_b32_e32 v28, v28, v29
	s_delay_alu instid0(VALU_DEP_3) | instskip(NEXT) | instid1(VALU_DEP_2)
	v_and_b32_e32 v30, 0xf8, v30
	v_cmp_ne_u32_e32 vcc_lo, 0, v28
	v_and_b32_e32 v31, 7, v29
	s_delay_alu instid0(VALU_DEP_1) | instskip(SKIP_1) | instid1(VALU_DEP_1)
	v_or3_b32 v24, v30, v24, v31
	s_wait_alu 0xfffd
	v_cndmask_b32_e32 v28, 0, v24, vcc_lo
.LBB3_777:
	s_wait_alu 0xfffe
	s_or_b32 exec_lo, exec_lo, s6
.LBB3_778:
	s_delay_alu instid0(SALU_CYCLE_1) | instskip(SKIP_3) | instid1(VALU_DEP_2)
	s_or_b32 exec_lo, exec_lo, s2
	v_and_b32_e32 v24, 0x7f800000, v25
	v_mov_b32_e32 v29, 0x8000
	s_mov_b32 s2, exec_lo
	v_cmpx_ne_u32_e32 0x7f800000, v24
	s_cbranch_execz .LBB3_786
; %bb.779:
	v_mov_b32_e32 v29, 0
	s_mov_b32 s6, exec_lo
	v_cmpx_ne_u32_e32 0, v25
	s_cbranch_execz .LBB3_785
; %bb.780:
	v_bfe_u32 v24, v25, 23, 8
	s_delay_alu instid0(VALU_DEP_1) | instskip(SKIP_2) | instid1(VALU_DEP_2)
	v_sub_nc_u32_e32 v30, 0x78, v24
	v_cmp_gt_u32_e32 vcc_lo, 0x79, v24
	s_wait_alu 0xfffd
	v_dual_cndmask_b32 v30, 0, v30 :: v_dual_and_b32 v29, 0x7fffff, v25
	s_delay_alu instid0(VALU_DEP_1) | instskip(SKIP_2) | instid1(VALU_DEP_2)
	v_or_b32_e32 v31, 0x800000, v29
	v_cmp_eq_u32_e32 vcc_lo, 0, v24
	s_wait_alu 0xfffd
	v_dual_cndmask_b32 v29, v31, v29 :: v_dual_add_nc_u32 v24, 0xffffff89, v24
	v_cndmask_b32_e64 v30, v30, 0x77, vcc_lo
	s_delay_alu instid0(VALU_DEP_2) | instskip(NEXT) | instid1(VALU_DEP_2)
	v_cndmask_b32_e64 v24, v24, 0xffffff8a, vcc_lo
	v_lshrrev_b32_e32 v32, v30, v29
	v_lshl_add_u32 v31, 0x100000, v30, -1
	v_lshlrev_b32_e64 v34, v30, 0x80000
	s_delay_alu instid0(VALU_DEP_4) | instskip(NEXT) | instid1(VALU_DEP_4)
	v_add_nc_u32_e32 v30, v30, v24
	v_bfe_u32 v33, v32, 20, 1
	s_delay_alu instid0(VALU_DEP_4) | instskip(NEXT) | instid1(VALU_DEP_2)
	v_and_b32_e32 v29, v31, v29
	v_add_nc_u32_e32 v31, -1, v33
	s_delay_alu instid0(VALU_DEP_2) | instskip(SKIP_1) | instid1(VALU_DEP_1)
	v_cmp_eq_u32_e64 s0, v29, v34
	s_wait_alu 0xf1ff
	v_cndmask_b32_e64 v29, 0, v31, s0
	v_lshrrev_b32_e32 v31, 23, v32
	s_mov_b32 s0, exec_lo
	s_delay_alu instid0(VALU_DEP_2) | instskip(NEXT) | instid1(VALU_DEP_2)
	v_add_nc_u32_e32 v29, v29, v32
	v_xor_b32_e32 v31, 1, v31
	s_delay_alu instid0(VALU_DEP_2) | instskip(NEXT) | instid1(VALU_DEP_1)
	v_and_b32_e32 v24, 0xfffff, v29
	v_add_nc_u32_e32 v29, v24, v32
                                        ; implicit-def: $vgpr24
	s_delay_alu instid0(VALU_DEP_3)
	v_cmpx_ne_u32_e64 v30, v31
	s_wait_alu 0xfffe
	s_xor_b32 s0, exec_lo, s0
; %bb.781:
	s_delay_alu instid0(VALU_DEP_2) | instskip(SKIP_3) | instid1(VALU_DEP_2)
	v_cmp_lt_u32_e32 vcc_lo, 0xffffff, v29
	v_sub_nc_u32_e32 v24, v30, v31
	s_wait_alu 0xfffd
	v_cndmask_b32_e64 v30, 0, 1, vcc_lo
	v_add_co_ci_u32_e64 v24, null, 0, v24, vcc_lo
	s_delay_alu instid0(VALU_DEP_2)
	v_lshrrev_b32_e32 v29, v30, v29
; %bb.782:
	s_wait_alu 0xfffe
	s_and_not1_saveexec_b32 s0, s0
; %bb.783:
	s_delay_alu instid0(VALU_DEP_1)
	v_bfe_u32 v24, v29, 23, 1
; %bb.784:
	s_wait_alu 0xfffe
	s_or_b32 exec_lo, exec_lo, s0
	v_lshrrev_b32_e32 v29, 20, v29
	s_delay_alu instid0(VALU_DEP_2) | instskip(SKIP_3) | instid1(VALU_DEP_2)
	v_cmp_gt_i32_e32 vcc_lo, 16, v24
	v_min_i32_e32 v30, 15, v24
	v_lshrrev_b32_e32 v25, 24, v25
	s_wait_alu 0xfffd
	v_dual_cndmask_b32 v29, 7, v29 :: v_dual_lshlrev_b32 v30, 3, v30
	s_delay_alu instid0(VALU_DEP_2) | instskip(NEXT) | instid1(VALU_DEP_2)
	v_and_b32_e32 v25, 0x80, v25
	v_or_b32_e32 v24, v24, v29
	v_and_b32_e32 v31, 7, v29
	s_delay_alu instid0(VALU_DEP_2) | instskip(SKIP_1) | instid1(VALU_DEP_1)
	v_cmp_ne_u32_e32 vcc_lo, 0, v24
	v_and_b32_e32 v30, 0xf8, v30
	v_or3_b32 v25, v25, v30, v31
	s_delay_alu instid0(VALU_DEP_1) | instskip(SKIP_1) | instid1(VALU_DEP_1)
	v_lshlrev_b32_e32 v25, 8, v25
	s_wait_alu 0xfffd
	v_cndmask_b32_e32 v29, 0, v25, vcc_lo
.LBB3_785:
	s_wait_alu 0xfffe
	s_or_b32 exec_lo, exec_lo, s6
.LBB3_786:
	s_delay_alu instid0(SALU_CYCLE_1) | instskip(SKIP_3) | instid1(VALU_DEP_2)
	s_or_b32 exec_lo, exec_lo, s2
	v_and_b32_e32 v24, 0x7f800000, v26
	v_mov_b32_e32 v30, 0x800000
	s_mov_b32 s2, exec_lo
	v_cmpx_ne_u32_e32 0x7f800000, v24
	s_cbranch_execz .LBB3_794
; %bb.787:
	v_mov_b32_e32 v30, 0
	s_mov_b32 s6, exec_lo
	v_cmpx_ne_u32_e32 0, v26
	s_cbranch_execz .LBB3_793
; %bb.788:
	v_bfe_u32 v24, v26, 23, 8
	v_and_b32_e32 v25, 0x7fffff, v26
	s_delay_alu instid0(VALU_DEP_2) | instskip(SKIP_1) | instid1(VALU_DEP_3)
	v_sub_nc_u32_e32 v30, 0x78, v24
	v_cmp_gt_u32_e32 vcc_lo, 0x79, v24
	v_or_b32_e32 v31, 0x800000, v25
	s_wait_alu 0xfffd
	s_delay_alu instid0(VALU_DEP_3) | instskip(SKIP_3) | instid1(VALU_DEP_3)
	v_cndmask_b32_e32 v30, 0, v30, vcc_lo
	v_cmp_eq_u32_e32 vcc_lo, 0, v24
	s_wait_alu 0xfffd
	v_dual_cndmask_b32 v25, v31, v25 :: v_dual_add_nc_u32 v24, 0xffffff89, v24
	v_cndmask_b32_e64 v30, v30, 0x77, vcc_lo
	s_delay_alu instid0(VALU_DEP_2) | instskip(NEXT) | instid1(VALU_DEP_2)
	v_cndmask_b32_e64 v24, v24, 0xffffff8a, vcc_lo
	v_lshrrev_b32_e32 v32, v30, v25
	v_lshl_add_u32 v31, 0x100000, v30, -1
	v_lshlrev_b32_e64 v34, v30, 0x80000
	s_delay_alu instid0(VALU_DEP_4) | instskip(NEXT) | instid1(VALU_DEP_4)
	v_add_nc_u32_e32 v30, v30, v24
	v_bfe_u32 v33, v32, 20, 1
	s_delay_alu instid0(VALU_DEP_4) | instskip(NEXT) | instid1(VALU_DEP_2)
	v_and_b32_e32 v25, v31, v25
	v_add_nc_u32_e32 v31, -1, v33
	s_delay_alu instid0(VALU_DEP_2) | instskip(SKIP_1) | instid1(VALU_DEP_1)
	v_cmp_eq_u32_e64 s0, v25, v34
	s_wait_alu 0xf1ff
	v_cndmask_b32_e64 v25, 0, v31, s0
	v_lshrrev_b32_e32 v31, 23, v32
	s_mov_b32 s0, exec_lo
	s_delay_alu instid0(VALU_DEP_2) | instskip(NEXT) | instid1(VALU_DEP_2)
	v_add_nc_u32_e32 v25, v25, v32
	v_xor_b32_e32 v31, 1, v31
	s_delay_alu instid0(VALU_DEP_2) | instskip(NEXT) | instid1(VALU_DEP_1)
	v_and_b32_e32 v24, 0xfffff, v25
	v_add_nc_u32_e32 v25, v24, v32
                                        ; implicit-def: $vgpr24
	s_delay_alu instid0(VALU_DEP_3)
	v_cmpx_ne_u32_e64 v30, v31
	s_wait_alu 0xfffe
	s_xor_b32 s0, exec_lo, s0
; %bb.789:
	s_delay_alu instid0(VALU_DEP_2) | instskip(SKIP_3) | instid1(VALU_DEP_2)
	v_cmp_lt_u32_e32 vcc_lo, 0xffffff, v25
	v_sub_nc_u32_e32 v24, v30, v31
	s_wait_alu 0xfffd
	v_cndmask_b32_e64 v30, 0, 1, vcc_lo
	v_add_co_ci_u32_e64 v24, null, 0, v24, vcc_lo
	s_delay_alu instid0(VALU_DEP_2)
	v_lshrrev_b32_e32 v25, v30, v25
; %bb.790:
	s_wait_alu 0xfffe
	s_and_not1_saveexec_b32 s0, s0
; %bb.791:
	s_delay_alu instid0(VALU_DEP_1)
	v_bfe_u32 v24, v25, 23, 1
; %bb.792:
	s_wait_alu 0xfffe
	s_or_b32 exec_lo, exec_lo, s0
	v_lshrrev_b32_e32 v25, 20, v25
	s_delay_alu instid0(VALU_DEP_2) | instskip(SKIP_3) | instid1(VALU_DEP_3)
	v_min_i32_e32 v30, 15, v24
	v_cmp_gt_i32_e32 vcc_lo, 16, v24
	v_lshrrev_b32_e32 v26, 24, v26
	s_wait_alu 0xfffd
	v_dual_cndmask_b32 v25, 7, v25 :: v_dual_lshlrev_b32 v30, 3, v30
	s_delay_alu instid0(VALU_DEP_2) | instskip(NEXT) | instid1(VALU_DEP_2)
	v_and_b32_e32 v26, 0x80, v26
	v_and_b32_e32 v30, 0xf8, v30
	s_delay_alu instid0(VALU_DEP_3) | instskip(SKIP_1) | instid1(VALU_DEP_2)
	v_and_b32_e32 v31, 7, v25
	v_or_b32_e32 v24, v24, v25
	v_or3_b32 v26, v26, v30, v31
	s_delay_alu instid0(VALU_DEP_2) | instskip(NEXT) | instid1(VALU_DEP_2)
	v_cmp_ne_u32_e32 vcc_lo, 0, v24
	v_lshlrev_b32_e32 v25, 16, v26
	s_wait_alu 0xfffd
	s_delay_alu instid0(VALU_DEP_1)
	v_cndmask_b32_e32 v30, 0, v25, vcc_lo
.LBB3_793:
	s_wait_alu 0xfffe
	s_or_b32 exec_lo, exec_lo, s6
.LBB3_794:
	s_delay_alu instid0(SALU_CYCLE_1) | instskip(SKIP_3) | instid1(VALU_DEP_2)
	s_or_b32 exec_lo, exec_lo, s2
	v_and_b32_e32 v24, 0x7f800000, v27
	v_bfrev_b32_e32 v31, 1
	s_mov_b32 s2, exec_lo
	v_cmpx_ne_u32_e32 0x7f800000, v24
	s_cbranch_execz .LBB3_802
; %bb.795:
	v_mov_b32_e32 v31, 0
	s_mov_b32 s6, exec_lo
	v_cmpx_ne_u32_e32 0, v27
	s_cbranch_execz .LBB3_801
; %bb.796:
	v_bfe_u32 v24, v27, 23, 8
	s_delay_alu instid0(VALU_DEP_1) | instskip(SKIP_2) | instid1(VALU_DEP_2)
	v_sub_nc_u32_e32 v26, 0x78, v24
	v_cmp_gt_u32_e32 vcc_lo, 0x79, v24
	s_wait_alu 0xfffd
	v_dual_cndmask_b32 v26, 0, v26 :: v_dual_and_b32 v25, 0x7fffff, v27
	s_delay_alu instid0(VALU_DEP_1) | instskip(SKIP_2) | instid1(VALU_DEP_2)
	v_or_b32_e32 v31, 0x800000, v25
	v_cmp_eq_u32_e32 vcc_lo, 0, v24
	s_wait_alu 0xfffd
	v_dual_cndmask_b32 v25, v31, v25 :: v_dual_add_nc_u32 v24, 0xffffff89, v24
	v_cndmask_b32_e64 v26, v26, 0x77, vcc_lo
	s_delay_alu instid0(VALU_DEP_2) | instskip(NEXT) | instid1(VALU_DEP_2)
	v_cndmask_b32_e64 v24, v24, 0xffffff8a, vcc_lo
	v_lshrrev_b32_e32 v32, v26, v25
	v_lshl_add_u32 v31, 0x100000, v26, -1
	v_lshlrev_b32_e64 v34, v26, 0x80000
	s_delay_alu instid0(VALU_DEP_4) | instskip(NEXT) | instid1(VALU_DEP_4)
	v_add_nc_u32_e32 v26, v26, v24
	v_bfe_u32 v33, v32, 20, 1
	s_delay_alu instid0(VALU_DEP_4) | instskip(NEXT) | instid1(VALU_DEP_2)
	v_and_b32_e32 v25, v31, v25
	v_add_nc_u32_e32 v31, -1, v33
	s_delay_alu instid0(VALU_DEP_2) | instskip(SKIP_1) | instid1(VALU_DEP_1)
	v_cmp_eq_u32_e64 s0, v25, v34
	s_wait_alu 0xf1ff
	v_cndmask_b32_e64 v25, 0, v31, s0
	v_lshrrev_b32_e32 v31, 23, v32
	s_mov_b32 s0, exec_lo
	s_delay_alu instid0(VALU_DEP_2) | instskip(NEXT) | instid1(VALU_DEP_2)
	v_add_nc_u32_e32 v25, v25, v32
	v_xor_b32_e32 v31, 1, v31
	s_delay_alu instid0(VALU_DEP_2) | instskip(NEXT) | instid1(VALU_DEP_1)
	v_and_b32_e32 v24, 0xfffff, v25
	v_add_nc_u32_e32 v25, v24, v32
                                        ; implicit-def: $vgpr24
	s_delay_alu instid0(VALU_DEP_3)
	v_cmpx_ne_u32_e64 v26, v31
	s_wait_alu 0xfffe
	s_xor_b32 s0, exec_lo, s0
; %bb.797:
	s_delay_alu instid0(VALU_DEP_2) | instskip(SKIP_3) | instid1(VALU_DEP_2)
	v_cmp_lt_u32_e32 vcc_lo, 0xffffff, v25
	v_sub_nc_u32_e32 v24, v26, v31
	s_wait_alu 0xfffd
	v_cndmask_b32_e64 v26, 0, 1, vcc_lo
	v_add_co_ci_u32_e64 v24, null, 0, v24, vcc_lo
	s_delay_alu instid0(VALU_DEP_2)
	v_lshrrev_b32_e32 v25, v26, v25
; %bb.798:
	s_wait_alu 0xfffe
	s_and_not1_saveexec_b32 s0, s0
; %bb.799:
	s_delay_alu instid0(VALU_DEP_1)
	v_bfe_u32 v24, v25, 23, 1
; %bb.800:
	s_wait_alu 0xfffe
	s_or_b32 exec_lo, exec_lo, s0
	v_lshrrev_b32_e32 v25, 20, v25
	s_delay_alu instid0(VALU_DEP_2) | instskip(SKIP_3) | instid1(VALU_DEP_2)
	v_cmp_gt_i32_e32 vcc_lo, 16, v24
	v_lshrrev_b32_e32 v26, 24, v27
	v_min_i32_e32 v27, 15, v24
	s_wait_alu 0xfffd
	v_dual_cndmask_b32 v25, 7, v25 :: v_dual_and_b32 v26, 0x80, v26
	s_delay_alu instid0(VALU_DEP_2) | instskip(NEXT) | instid1(VALU_DEP_2)
	v_lshlrev_b32_e32 v27, 3, v27
	v_and_b32_e32 v31, 7, v25
	v_or_b32_e32 v24, v24, v25
	s_delay_alu instid0(VALU_DEP_2) | instskip(NEXT) | instid1(VALU_DEP_2)
	v_or3_b32 v26, v26, v27, v31
	v_cmp_ne_u32_e32 vcc_lo, 0, v24
	s_delay_alu instid0(VALU_DEP_2) | instskip(SKIP_1) | instid1(VALU_DEP_1)
	v_lshlrev_b32_e32 v25, 24, v26
	s_wait_alu 0xfffd
	v_cndmask_b32_e32 v31, 0, v25, vcc_lo
.LBB3_801:
	s_wait_alu 0xfffe
	s_or_b32 exec_lo, exec_lo, s6
.LBB3_802:
	s_delay_alu instid0(SALU_CYCLE_1)
	s_or_b32 exec_lo, exec_lo, s2
	ds_load_b128 v[24:27], v208 offset:16
	v_or_b32_e32 v29, v29, v28
	v_add_nc_u32_e32 v28, s4, v36
	v_wmma_f32_16x16x16_fp8_fp8 v[16:23], v[156:157], v[148:149], v[16:23]
	s_mov_b32 s0, s14
	s_mov_b32 s2, s5
	v_or3_b32 v30, v30, v29, v31
	v_mov_b32_e32 v29, 0x80
	buffer_store_b32 v30, v28, s[0:3], null offen
	s_mov_b32 s2, exec_lo
	s_wait_dscnt 0x0
	v_and_b32_e32 v32, 0x7f800000, v24
	s_delay_alu instid0(VALU_DEP_1)
	v_cmpx_ne_u32_e32 0x7f800000, v32
	s_cbranch_execz .LBB3_810
; %bb.803:
	v_mov_b32_e32 v29, 0
	s_mov_b32 s6, exec_lo
	v_cmpx_ne_u32_e32 0, v24
	s_cbranch_execz .LBB3_809
; %bb.804:
	v_bfe_u32 v29, v24, 23, 8
	s_delay_alu instid0(VALU_DEP_1) | instskip(SKIP_2) | instid1(VALU_DEP_2)
	v_sub_nc_u32_e32 v31, 0x78, v29
	v_cmp_gt_u32_e32 vcc_lo, 0x79, v29
	s_wait_alu 0xfffd
	v_dual_cndmask_b32 v31, 0, v31 :: v_dual_and_b32 v30, 0x7fffff, v24
	s_delay_alu instid0(VALU_DEP_1) | instskip(SKIP_2) | instid1(VALU_DEP_2)
	v_or_b32_e32 v32, 0x800000, v30
	v_cmp_eq_u32_e32 vcc_lo, 0, v29
	s_wait_alu 0xfffd
	v_dual_cndmask_b32 v30, v32, v30 :: v_dual_add_nc_u32 v29, 0xffffff89, v29
	v_cndmask_b32_e64 v31, v31, 0x77, vcc_lo
	s_delay_alu instid0(VALU_DEP_2) | instskip(NEXT) | instid1(VALU_DEP_2)
	v_cndmask_b32_e64 v29, v29, 0xffffff8a, vcc_lo
	v_lshrrev_b32_e32 v33, v31, v30
	v_lshl_add_u32 v32, 0x100000, v31, -1
	v_lshlrev_b32_e64 v35, v31, 0x80000
	s_delay_alu instid0(VALU_DEP_4) | instskip(NEXT) | instid1(VALU_DEP_4)
	v_add_nc_u32_e32 v31, v31, v29
	v_bfe_u32 v34, v33, 20, 1
	s_delay_alu instid0(VALU_DEP_4) | instskip(NEXT) | instid1(VALU_DEP_2)
	v_and_b32_e32 v30, v32, v30
	v_add_nc_u32_e32 v32, -1, v34
	s_delay_alu instid0(VALU_DEP_2) | instskip(SKIP_1) | instid1(VALU_DEP_1)
	v_cmp_eq_u32_e64 s0, v30, v35
	s_wait_alu 0xf1ff
	v_cndmask_b32_e64 v30, 0, v32, s0
	v_lshrrev_b32_e32 v32, 23, v33
	s_mov_b32 s0, exec_lo
	s_delay_alu instid0(VALU_DEP_2) | instskip(NEXT) | instid1(VALU_DEP_2)
	v_add_nc_u32_e32 v30, v30, v33
	v_xor_b32_e32 v32, 1, v32
	s_delay_alu instid0(VALU_DEP_2) | instskip(NEXT) | instid1(VALU_DEP_1)
	v_and_b32_e32 v29, 0xfffff, v30
	v_add_nc_u32_e32 v30, v29, v33
                                        ; implicit-def: $vgpr29
	s_delay_alu instid0(VALU_DEP_3)
	v_cmpx_ne_u32_e64 v31, v32
	s_wait_alu 0xfffe
	s_xor_b32 s0, exec_lo, s0
; %bb.805:
	s_delay_alu instid0(VALU_DEP_2) | instskip(SKIP_3) | instid1(VALU_DEP_2)
	v_cmp_lt_u32_e32 vcc_lo, 0xffffff, v30
	v_sub_nc_u32_e32 v29, v31, v32
	s_wait_alu 0xfffd
	v_cndmask_b32_e64 v31, 0, 1, vcc_lo
	v_add_co_ci_u32_e64 v29, null, 0, v29, vcc_lo
	s_delay_alu instid0(VALU_DEP_2)
	v_lshrrev_b32_e32 v30, v31, v30
; %bb.806:
	s_wait_alu 0xfffe
	s_and_not1_saveexec_b32 s0, s0
; %bb.807:
	s_delay_alu instid0(VALU_DEP_1)
	v_bfe_u32 v29, v30, 23, 1
; %bb.808:
	s_wait_alu 0xfffe
	s_or_b32 exec_lo, exec_lo, s0
	v_lshrrev_b32_e32 v30, 20, v30
	s_delay_alu instid0(VALU_DEP_2) | instskip(SKIP_3) | instid1(VALU_DEP_2)
	v_cmp_gt_i32_e32 vcc_lo, 16, v29
	v_min_i32_e32 v31, 15, v29
	v_lshrrev_b32_e32 v24, 24, v24
	s_wait_alu 0xfffd
	v_dual_cndmask_b32 v30, 7, v30 :: v_dual_lshlrev_b32 v31, 3, v31
	s_delay_alu instid0(VALU_DEP_2) | instskip(NEXT) | instid1(VALU_DEP_2)
	v_and_b32_e32 v24, 0x80, v24
	v_or_b32_e32 v29, v29, v30
	s_delay_alu instid0(VALU_DEP_3) | instskip(NEXT) | instid1(VALU_DEP_2)
	v_and_b32_e32 v31, 0xf8, v31
	v_cmp_ne_u32_e32 vcc_lo, 0, v29
	v_and_b32_e32 v32, 7, v30
	s_delay_alu instid0(VALU_DEP_1) | instskip(SKIP_1) | instid1(VALU_DEP_1)
	v_or3_b32 v24, v31, v24, v32
	s_wait_alu 0xfffd
	v_cndmask_b32_e32 v29, 0, v24, vcc_lo
.LBB3_809:
	s_wait_alu 0xfffe
	s_or_b32 exec_lo, exec_lo, s6
.LBB3_810:
	s_delay_alu instid0(SALU_CYCLE_1) | instskip(SKIP_2) | instid1(VALU_DEP_2)
	s_or_b32 exec_lo, exec_lo, s2
	v_and_b32_e32 v24, 0x7f800000, v25
	v_wmma_f32_16x16x16_fp8_fp8 v[16:23], v[158:159], v[150:151], v[16:23]
	v_cmp_ne_u32_e32 vcc_lo, 0x7f800000, v24
	v_mov_b32_e32 v24, 0x8000
	s_and_saveexec_b32 s2, vcc_lo
	s_cbranch_execz .LBB3_818
; %bb.811:
	v_mov_b32_e32 v24, 0
	s_mov_b32 s6, exec_lo
	v_cmpx_ne_u32_e32 0, v25
	s_cbranch_execz .LBB3_817
; %bb.812:
	v_bfe_u32 v24, v25, 23, 8
	s_delay_alu instid0(VALU_DEP_1) | instskip(SKIP_2) | instid1(VALU_DEP_2)
	v_sub_nc_u32_e32 v31, 0x78, v24
	v_cmp_gt_u32_e32 vcc_lo, 0x79, v24
	s_wait_alu 0xfffd
	v_dual_cndmask_b32 v31, 0, v31 :: v_dual_and_b32 v30, 0x7fffff, v25
	s_delay_alu instid0(VALU_DEP_1) | instskip(SKIP_4) | instid1(VALU_DEP_2)
	v_or_b32_e32 v32, 0x800000, v30
	v_cmp_eq_u32_e32 vcc_lo, 0, v24
	v_add_nc_u32_e32 v24, 0xffffff89, v24
	s_wait_alu 0xfffd
	v_cndmask_b32_e64 v31, v31, 0x77, vcc_lo
	v_cndmask_b32_e64 v24, v24, 0xffffff8a, vcc_lo
	v_cndmask_b32_e32 v30, v32, v30, vcc_lo
	s_delay_alu instid0(VALU_DEP_3) | instskip(SKIP_1) | instid1(VALU_DEP_3)
	v_lshl_add_u32 v32, 0x100000, v31, -1
	v_lshlrev_b32_e64 v35, v31, 0x80000
	v_lshrrev_b32_e32 v33, v31, v30
	v_add_nc_u32_e32 v31, v31, v24
	s_delay_alu instid0(VALU_DEP_4) | instskip(NEXT) | instid1(VALU_DEP_3)
	v_and_b32_e32 v30, v32, v30
	v_bfe_u32 v34, v33, 20, 1
	s_delay_alu instid0(VALU_DEP_2) | instskip(NEXT) | instid1(VALU_DEP_2)
	v_cmp_eq_u32_e64 s0, v30, v35
	v_add_nc_u32_e32 v32, -1, v34
	s_wait_alu 0xf1ff
	s_delay_alu instid0(VALU_DEP_1) | instskip(SKIP_2) | instid1(VALU_DEP_2)
	v_cndmask_b32_e64 v30, 0, v32, s0
	v_lshrrev_b32_e32 v32, 23, v33
	s_mov_b32 s0, exec_lo
	v_add_nc_u32_e32 v30, v30, v33
	s_delay_alu instid0(VALU_DEP_2) | instskip(NEXT) | instid1(VALU_DEP_2)
	v_xor_b32_e32 v32, 1, v32
	v_and_b32_e32 v24, 0xfffff, v30
	s_delay_alu instid0(VALU_DEP_1) | instskip(NEXT) | instid1(VALU_DEP_3)
	v_add_nc_u32_e32 v30, v24, v33
                                        ; implicit-def: $vgpr24
	v_cmpx_ne_u32_e64 v31, v32
	s_wait_alu 0xfffe
	s_xor_b32 s0, exec_lo, s0
; %bb.813:
	s_delay_alu instid0(VALU_DEP_2) | instskip(SKIP_3) | instid1(VALU_DEP_2)
	v_cmp_lt_u32_e32 vcc_lo, 0xffffff, v30
	v_sub_nc_u32_e32 v24, v31, v32
	s_wait_alu 0xfffd
	v_cndmask_b32_e64 v31, 0, 1, vcc_lo
	v_add_co_ci_u32_e64 v24, null, 0, v24, vcc_lo
	s_delay_alu instid0(VALU_DEP_2)
	v_lshrrev_b32_e32 v30, v31, v30
; %bb.814:
	s_wait_alu 0xfffe
	s_and_not1_saveexec_b32 s0, s0
; %bb.815:
	s_delay_alu instid0(VALU_DEP_1)
	v_bfe_u32 v24, v30, 23, 1
; %bb.816:
	s_wait_alu 0xfffe
	s_or_b32 exec_lo, exec_lo, s0
	v_lshrrev_b32_e32 v30, 20, v30
	s_delay_alu instid0(VALU_DEP_2) | instskip(SKIP_3) | instid1(VALU_DEP_2)
	v_cmp_gt_i32_e32 vcc_lo, 16, v24
	v_min_i32_e32 v31, 15, v24
	v_lshrrev_b32_e32 v25, 24, v25
	s_wait_alu 0xfffd
	v_dual_cndmask_b32 v30, 7, v30 :: v_dual_lshlrev_b32 v31, 3, v31
	s_delay_alu instid0(VALU_DEP_2) | instskip(NEXT) | instid1(VALU_DEP_2)
	v_and_b32_e32 v25, 0x80, v25
	v_or_b32_e32 v24, v24, v30
	v_and_b32_e32 v32, 7, v30
	s_delay_alu instid0(VALU_DEP_2) | instskip(SKIP_1) | instid1(VALU_DEP_1)
	v_cmp_ne_u32_e32 vcc_lo, 0, v24
	v_and_b32_e32 v31, 0xf8, v31
	v_or3_b32 v25, v25, v31, v32
	s_delay_alu instid0(VALU_DEP_1) | instskip(SKIP_1) | instid1(VALU_DEP_1)
	v_lshlrev_b32_e32 v25, 8, v25
	s_wait_alu 0xfffd
	v_cndmask_b32_e32 v24, 0, v25, vcc_lo
.LBB3_817:
	s_wait_alu 0xfffe
	s_or_b32 exec_lo, exec_lo, s6
.LBB3_818:
	s_delay_alu instid0(SALU_CYCLE_1) | instskip(SKIP_2) | instid1(VALU_DEP_2)
	s_or_b32 exec_lo, exec_lo, s2
	v_and_b32_e32 v25, 0x7f800000, v26
	v_wmma_f32_16x16x16_fp8_fp8 v[16:23], v[152:153], v[144:145], v[16:23]
	v_cmp_ne_u32_e32 vcc_lo, 0x7f800000, v25
	v_mov_b32_e32 v25, 0x800000
	s_and_saveexec_b32 s2, vcc_lo
	s_cbranch_execz .LBB3_826
; %bb.819:
	v_mov_b32_e32 v25, 0
	s_mov_b32 s6, exec_lo
	v_cmpx_ne_u32_e32 0, v26
	s_cbranch_execz .LBB3_825
; %bb.820:
	v_bfe_u32 v25, v26, 23, 8
	s_delay_alu instid0(VALU_DEP_1) | instskip(SKIP_2) | instid1(VALU_DEP_2)
	v_sub_nc_u32_e32 v31, 0x78, v25
	v_cmp_gt_u32_e32 vcc_lo, 0x79, v25
	s_wait_alu 0xfffd
	v_dual_cndmask_b32 v31, 0, v31 :: v_dual_and_b32 v30, 0x7fffff, v26
	s_delay_alu instid0(VALU_DEP_1) | instskip(SKIP_2) | instid1(VALU_DEP_2)
	v_or_b32_e32 v32, 0x800000, v30
	v_cmp_eq_u32_e32 vcc_lo, 0, v25
	s_wait_alu 0xfffd
	v_dual_cndmask_b32 v30, v32, v30 :: v_dual_add_nc_u32 v25, 0xffffff89, v25
	v_cndmask_b32_e64 v31, v31, 0x77, vcc_lo
	s_delay_alu instid0(VALU_DEP_2) | instskip(NEXT) | instid1(VALU_DEP_2)
	v_cndmask_b32_e64 v25, v25, 0xffffff8a, vcc_lo
	v_lshrrev_b32_e32 v33, v31, v30
	v_lshl_add_u32 v32, 0x100000, v31, -1
	v_lshlrev_b32_e64 v35, v31, 0x80000
	s_delay_alu instid0(VALU_DEP_4) | instskip(NEXT) | instid1(VALU_DEP_4)
	v_add_nc_u32_e32 v31, v31, v25
	v_bfe_u32 v34, v33, 20, 1
	s_delay_alu instid0(VALU_DEP_4) | instskip(NEXT) | instid1(VALU_DEP_2)
	v_and_b32_e32 v30, v32, v30
	v_add_nc_u32_e32 v32, -1, v34
	s_delay_alu instid0(VALU_DEP_2) | instskip(SKIP_1) | instid1(VALU_DEP_1)
	v_cmp_eq_u32_e64 s0, v30, v35
	s_wait_alu 0xf1ff
	v_cndmask_b32_e64 v30, 0, v32, s0
	v_lshrrev_b32_e32 v32, 23, v33
	s_mov_b32 s0, exec_lo
	s_delay_alu instid0(VALU_DEP_2) | instskip(NEXT) | instid1(VALU_DEP_2)
	v_add_nc_u32_e32 v30, v30, v33
	v_xor_b32_e32 v32, 1, v32
	s_delay_alu instid0(VALU_DEP_2) | instskip(NEXT) | instid1(VALU_DEP_1)
	v_and_b32_e32 v25, 0xfffff, v30
	v_add_nc_u32_e32 v30, v25, v33
                                        ; implicit-def: $vgpr25
	s_delay_alu instid0(VALU_DEP_3)
	v_cmpx_ne_u32_e64 v31, v32
	s_wait_alu 0xfffe
	s_xor_b32 s0, exec_lo, s0
; %bb.821:
	s_delay_alu instid0(VALU_DEP_2) | instskip(SKIP_3) | instid1(VALU_DEP_2)
	v_cmp_lt_u32_e32 vcc_lo, 0xffffff, v30
	v_sub_nc_u32_e32 v25, v31, v32
	s_wait_alu 0xfffd
	v_cndmask_b32_e64 v31, 0, 1, vcc_lo
	v_add_co_ci_u32_e64 v25, null, 0, v25, vcc_lo
	s_delay_alu instid0(VALU_DEP_2)
	v_lshrrev_b32_e32 v30, v31, v30
; %bb.822:
	s_wait_alu 0xfffe
	s_and_not1_saveexec_b32 s0, s0
; %bb.823:
	s_delay_alu instid0(VALU_DEP_1)
	v_bfe_u32 v25, v30, 23, 1
; %bb.824:
	s_wait_alu 0xfffe
	s_or_b32 exec_lo, exec_lo, s0
	v_lshrrev_b32_e32 v30, 20, v30
	s_delay_alu instid0(VALU_DEP_2) | instskip(SKIP_3) | instid1(VALU_DEP_3)
	v_min_i32_e32 v31, 15, v25
	v_cmp_gt_i32_e32 vcc_lo, 16, v25
	v_lshrrev_b32_e32 v26, 24, v26
	s_wait_alu 0xfffd
	v_dual_cndmask_b32 v30, 7, v30 :: v_dual_lshlrev_b32 v31, 3, v31
	s_delay_alu instid0(VALU_DEP_2) | instskip(NEXT) | instid1(VALU_DEP_2)
	v_and_b32_e32 v26, 0x80, v26
	v_and_b32_e32 v31, 0xf8, v31
	s_delay_alu instid0(VALU_DEP_3) | instskip(SKIP_1) | instid1(VALU_DEP_2)
	v_and_b32_e32 v32, 7, v30
	v_or_b32_e32 v25, v25, v30
	v_or3_b32 v26, v26, v31, v32
	s_delay_alu instid0(VALU_DEP_2) | instskip(NEXT) | instid1(VALU_DEP_2)
	v_cmp_ne_u32_e32 vcc_lo, 0, v25
	v_lshlrev_b32_e32 v26, 16, v26
	s_wait_alu 0xfffd
	s_delay_alu instid0(VALU_DEP_1)
	v_cndmask_b32_e32 v25, 0, v26, vcc_lo
.LBB3_825:
	s_wait_alu 0xfffe
	s_or_b32 exec_lo, exec_lo, s6
.LBB3_826:
	s_delay_alu instid0(SALU_CYCLE_1) | instskip(SKIP_2) | instid1(VALU_DEP_2)
	s_or_b32 exec_lo, exec_lo, s2
	v_and_b32_e32 v26, 0x7f800000, v27
	v_wmma_f32_16x16x16_fp8_fp8 v[16:23], v[154:155], v[146:147], v[16:23]
	v_cmp_ne_u32_e32 vcc_lo, 0x7f800000, v26
	v_bfrev_b32_e32 v26, 1
	s_and_saveexec_b32 s2, vcc_lo
	s_cbranch_execz .LBB3_834
; %bb.827:
	v_mov_b32_e32 v26, 0
	s_mov_b32 s6, exec_lo
	v_cmpx_ne_u32_e32 0, v27
	s_cbranch_execz .LBB3_833
; %bb.828:
	v_bfe_u32 v26, v27, 23, 8
	v_and_b32_e32 v30, 0x7fffff, v27
	s_delay_alu instid0(VALU_DEP_2) | instskip(SKIP_1) | instid1(VALU_DEP_3)
	v_sub_nc_u32_e32 v31, 0x78, v26
	v_cmp_gt_u32_e32 vcc_lo, 0x79, v26
	v_or_b32_e32 v32, 0x800000, v30
	s_wait_alu 0xfffd
	s_delay_alu instid0(VALU_DEP_3)
	v_cndmask_b32_e32 v31, 0, v31, vcc_lo
	v_cmp_eq_u32_e32 vcc_lo, 0, v26
	v_add_nc_u32_e32 v26, 0xffffff89, v26
	s_wait_alu 0xfffd
	v_cndmask_b32_e32 v30, v32, v30, vcc_lo
	v_cndmask_b32_e64 v31, v31, 0x77, vcc_lo
	s_delay_alu instid0(VALU_DEP_3) | instskip(NEXT) | instid1(VALU_DEP_2)
	v_cndmask_b32_e64 v26, v26, 0xffffff8a, vcc_lo
	v_lshrrev_b32_e32 v33, v31, v30
	v_lshl_add_u32 v32, 0x100000, v31, -1
	v_lshlrev_b32_e64 v35, v31, 0x80000
	s_delay_alu instid0(VALU_DEP_4) | instskip(NEXT) | instid1(VALU_DEP_4)
	v_add_nc_u32_e32 v31, v31, v26
	v_bfe_u32 v34, v33, 20, 1
	s_delay_alu instid0(VALU_DEP_4) | instskip(NEXT) | instid1(VALU_DEP_2)
	v_and_b32_e32 v30, v32, v30
	v_add_nc_u32_e32 v32, -1, v34
	s_delay_alu instid0(VALU_DEP_2) | instskip(SKIP_1) | instid1(VALU_DEP_1)
	v_cmp_eq_u32_e64 s0, v30, v35
	s_wait_alu 0xf1ff
	v_cndmask_b32_e64 v30, 0, v32, s0
	v_lshrrev_b32_e32 v32, 23, v33
	s_mov_b32 s0, exec_lo
	s_delay_alu instid0(VALU_DEP_2) | instskip(NEXT) | instid1(VALU_DEP_2)
	v_add_nc_u32_e32 v30, v30, v33
	v_xor_b32_e32 v32, 1, v32
	s_delay_alu instid0(VALU_DEP_2) | instskip(NEXT) | instid1(VALU_DEP_1)
	v_and_b32_e32 v26, 0xfffff, v30
	v_add_nc_u32_e32 v30, v26, v33
                                        ; implicit-def: $vgpr26
	s_delay_alu instid0(VALU_DEP_3)
	v_cmpx_ne_u32_e64 v31, v32
	s_wait_alu 0xfffe
	s_xor_b32 s0, exec_lo, s0
; %bb.829:
	s_delay_alu instid0(VALU_DEP_2) | instskip(SKIP_3) | instid1(VALU_DEP_2)
	v_cmp_lt_u32_e32 vcc_lo, 0xffffff, v30
	v_sub_nc_u32_e32 v26, v31, v32
	s_wait_alu 0xfffd
	v_cndmask_b32_e64 v31, 0, 1, vcc_lo
	v_add_co_ci_u32_e64 v26, null, 0, v26, vcc_lo
	s_delay_alu instid0(VALU_DEP_2)
	v_lshrrev_b32_e32 v30, v31, v30
; %bb.830:
	s_wait_alu 0xfffe
	s_and_not1_saveexec_b32 s0, s0
; %bb.831:
	s_delay_alu instid0(VALU_DEP_1)
	v_bfe_u32 v26, v30, 23, 1
; %bb.832:
	s_wait_alu 0xfffe
	s_or_b32 exec_lo, exec_lo, s0
	v_lshrrev_b32_e32 v30, 20, v30
	s_delay_alu instid0(VALU_DEP_2) | instskip(SKIP_3) | instid1(VALU_DEP_2)
	v_cmp_gt_i32_e32 vcc_lo, 16, v26
	v_lshrrev_b32_e32 v27, 24, v27
	v_min_i32_e32 v31, 15, v26
	s_wait_alu 0xfffd
	v_dual_cndmask_b32 v30, 7, v30 :: v_dual_and_b32 v27, 0x80, v27
	s_delay_alu instid0(VALU_DEP_2) | instskip(NEXT) | instid1(VALU_DEP_2)
	v_lshlrev_b32_e32 v31, 3, v31
	v_and_b32_e32 v32, 7, v30
	v_or_b32_e32 v26, v26, v30
	s_delay_alu instid0(VALU_DEP_2) | instskip(NEXT) | instid1(VALU_DEP_2)
	v_or3_b32 v27, v27, v31, v32
	v_cmp_ne_u32_e32 vcc_lo, 0, v26
	s_delay_alu instid0(VALU_DEP_2) | instskip(SKIP_1) | instid1(VALU_DEP_1)
	v_lshlrev_b32_e32 v27, 24, v27
	s_wait_alu 0xfffd
	v_cndmask_b32_e32 v26, 0, v27, vcc_lo
.LBB3_833:
	s_wait_alu 0xfffe
	s_or_b32 exec_lo, exec_lo, s6
.LBB3_834:
	s_delay_alu instid0(SALU_CYCLE_1) | instskip(SKIP_3) | instid1(VALU_DEP_1)
	s_or_b32 exec_lo, exec_lo, s2
	v_or_b32_e32 v24, v24, v29
	s_mov_b32 s0, s14
	s_mov_b32 s2, s5
	v_or3_b32 v24, v25, v24, v26
	buffer_store_b32 v24, v28, s[0:3], null offen offset:4
	s_wait_dscnt 0x0
	s_barrier_signal -1
	s_barrier_wait -1
	ds_store_2addr_stride64_b32 v209, v16, v17 offset1:1
	ds_store_2addr_stride64_b32 v209, v18, v19 offset0:2 offset1:3
	ds_store_2addr_stride64_b32 v209, v20, v21 offset0:4 offset1:5
	;; [unrolled: 1-line block ×3, first 2 shown]
	s_wait_dscnt 0x0
	s_barrier_signal -1
	s_barrier_wait -1
	ds_load_b128 v[16:19], v208
	s_wait_dscnt 0x0
	v_and_b32_e32 v20, 0x7f800000, v16
	s_delay_alu instid0(VALU_DEP_1)
	v_cmp_ne_u32_e32 vcc_lo, 0x7f800000, v20
	v_mov_b32_e32 v20, 0x80
	s_and_saveexec_b32 s2, vcc_lo
	s_cbranch_execz .LBB3_842
; %bb.835:
	v_mov_b32_e32 v20, 0
	s_mov_b32 s6, exec_lo
	v_cmpx_ne_u32_e32 0, v16
	s_cbranch_execz .LBB3_841
; %bb.836:
	v_bfe_u32 v20, v16, 23, 8
	s_delay_alu instid0(VALU_DEP_1) | instskip(SKIP_2) | instid1(VALU_DEP_2)
	v_sub_nc_u32_e32 v22, 0x78, v20
	v_cmp_gt_u32_e32 vcc_lo, 0x79, v20
	s_wait_alu 0xfffd
	v_dual_cndmask_b32 v22, 0, v22 :: v_dual_and_b32 v21, 0x7fffff, v16
	s_delay_alu instid0(VALU_DEP_1) | instskip(SKIP_2) | instid1(VALU_DEP_2)
	v_or_b32_e32 v23, 0x800000, v21
	v_cmp_eq_u32_e32 vcc_lo, 0, v20
	s_wait_alu 0xfffd
	v_dual_cndmask_b32 v21, v23, v21 :: v_dual_add_nc_u32 v20, 0xffffff89, v20
	v_cndmask_b32_e64 v22, v22, 0x77, vcc_lo
	s_delay_alu instid0(VALU_DEP_2) | instskip(NEXT) | instid1(VALU_DEP_2)
	v_cndmask_b32_e64 v20, v20, 0xffffff8a, vcc_lo
	v_lshrrev_b32_e32 v24, v22, v21
	v_lshl_add_u32 v23, 0x100000, v22, -1
	v_lshlrev_b32_e64 v26, v22, 0x80000
	s_delay_alu instid0(VALU_DEP_4) | instskip(NEXT) | instid1(VALU_DEP_4)
	v_add_nc_u32_e32 v22, v22, v20
	v_bfe_u32 v25, v24, 20, 1
	s_delay_alu instid0(VALU_DEP_4) | instskip(NEXT) | instid1(VALU_DEP_2)
	v_and_b32_e32 v21, v23, v21
	v_add_nc_u32_e32 v23, -1, v25
	s_delay_alu instid0(VALU_DEP_2) | instskip(SKIP_1) | instid1(VALU_DEP_1)
	v_cmp_eq_u32_e64 s0, v21, v26
	s_wait_alu 0xf1ff
	v_cndmask_b32_e64 v21, 0, v23, s0
	v_lshrrev_b32_e32 v23, 23, v24
	s_mov_b32 s0, exec_lo
	s_delay_alu instid0(VALU_DEP_2) | instskip(NEXT) | instid1(VALU_DEP_2)
	v_add_nc_u32_e32 v21, v21, v24
	v_xor_b32_e32 v23, 1, v23
	s_delay_alu instid0(VALU_DEP_2) | instskip(NEXT) | instid1(VALU_DEP_1)
	v_and_b32_e32 v20, 0xfffff, v21
	v_add_nc_u32_e32 v21, v20, v24
                                        ; implicit-def: $vgpr20
	s_delay_alu instid0(VALU_DEP_3)
	v_cmpx_ne_u32_e64 v22, v23
	s_wait_alu 0xfffe
	s_xor_b32 s0, exec_lo, s0
; %bb.837:
	s_delay_alu instid0(VALU_DEP_2) | instskip(SKIP_3) | instid1(VALU_DEP_2)
	v_cmp_lt_u32_e32 vcc_lo, 0xffffff, v21
	v_sub_nc_u32_e32 v20, v22, v23
	s_wait_alu 0xfffd
	v_cndmask_b32_e64 v22, 0, 1, vcc_lo
	v_add_co_ci_u32_e64 v20, null, 0, v20, vcc_lo
	s_delay_alu instid0(VALU_DEP_2)
	v_lshrrev_b32_e32 v21, v22, v21
; %bb.838:
	s_wait_alu 0xfffe
	s_and_not1_saveexec_b32 s0, s0
; %bb.839:
	s_delay_alu instid0(VALU_DEP_1)
	v_bfe_u32 v20, v21, 23, 1
; %bb.840:
	s_wait_alu 0xfffe
	s_or_b32 exec_lo, exec_lo, s0
	v_lshrrev_b32_e32 v21, 20, v21
	s_delay_alu instid0(VALU_DEP_2) | instskip(SKIP_3) | instid1(VALU_DEP_2)
	v_cmp_gt_i32_e32 vcc_lo, 16, v20
	v_min_i32_e32 v22, 15, v20
	v_lshrrev_b32_e32 v16, 24, v16
	s_wait_alu 0xfffd
	v_dual_cndmask_b32 v21, 7, v21 :: v_dual_lshlrev_b32 v22, 3, v22
	s_delay_alu instid0(VALU_DEP_2) | instskip(NEXT) | instid1(VALU_DEP_2)
	v_and_b32_e32 v16, 0x80, v16
	v_or_b32_e32 v20, v20, v21
	s_delay_alu instid0(VALU_DEP_3) | instskip(NEXT) | instid1(VALU_DEP_2)
	v_and_b32_e32 v22, 0xf8, v22
	v_cmp_ne_u32_e32 vcc_lo, 0, v20
	v_and_b32_e32 v23, 7, v21
	s_delay_alu instid0(VALU_DEP_1) | instskip(SKIP_1) | instid1(VALU_DEP_1)
	v_or3_b32 v16, v22, v16, v23
	s_wait_alu 0xfffd
	v_cndmask_b32_e32 v20, 0, v16, vcc_lo
.LBB3_841:
	s_wait_alu 0xfffe
	s_or_b32 exec_lo, exec_lo, s6
.LBB3_842:
	s_delay_alu instid0(SALU_CYCLE_1) | instskip(SKIP_3) | instid1(VALU_DEP_2)
	s_or_b32 exec_lo, exec_lo, s2
	v_and_b32_e32 v16, 0x7f800000, v17
	v_mov_b32_e32 v21, 0x8000
	s_mov_b32 s2, exec_lo
	v_cmpx_ne_u32_e32 0x7f800000, v16
	s_cbranch_execz .LBB3_850
; %bb.843:
	v_mov_b32_e32 v21, 0
	s_mov_b32 s6, exec_lo
	v_cmpx_ne_u32_e32 0, v17
	s_cbranch_execz .LBB3_849
; %bb.844:
	v_bfe_u32 v16, v17, 23, 8
	s_delay_alu instid0(VALU_DEP_1) | instskip(SKIP_2) | instid1(VALU_DEP_2)
	v_sub_nc_u32_e32 v22, 0x78, v16
	v_cmp_gt_u32_e32 vcc_lo, 0x79, v16
	s_wait_alu 0xfffd
	v_dual_cndmask_b32 v22, 0, v22 :: v_dual_and_b32 v21, 0x7fffff, v17
	s_delay_alu instid0(VALU_DEP_1) | instskip(SKIP_2) | instid1(VALU_DEP_2)
	v_or_b32_e32 v23, 0x800000, v21
	v_cmp_eq_u32_e32 vcc_lo, 0, v16
	s_wait_alu 0xfffd
	v_dual_cndmask_b32 v21, v23, v21 :: v_dual_add_nc_u32 v16, 0xffffff89, v16
	v_cndmask_b32_e64 v22, v22, 0x77, vcc_lo
	s_delay_alu instid0(VALU_DEP_2) | instskip(NEXT) | instid1(VALU_DEP_2)
	v_cndmask_b32_e64 v16, v16, 0xffffff8a, vcc_lo
	v_lshrrev_b32_e32 v24, v22, v21
	v_lshl_add_u32 v23, 0x100000, v22, -1
	v_lshlrev_b32_e64 v26, v22, 0x80000
	s_delay_alu instid0(VALU_DEP_4) | instskip(NEXT) | instid1(VALU_DEP_4)
	v_add_nc_u32_e32 v22, v22, v16
	v_bfe_u32 v25, v24, 20, 1
	s_delay_alu instid0(VALU_DEP_4) | instskip(NEXT) | instid1(VALU_DEP_2)
	v_and_b32_e32 v21, v23, v21
	v_add_nc_u32_e32 v23, -1, v25
	s_delay_alu instid0(VALU_DEP_2) | instskip(SKIP_1) | instid1(VALU_DEP_1)
	v_cmp_eq_u32_e64 s0, v21, v26
	s_wait_alu 0xf1ff
	v_cndmask_b32_e64 v21, 0, v23, s0
	v_lshrrev_b32_e32 v23, 23, v24
	s_mov_b32 s0, exec_lo
	s_delay_alu instid0(VALU_DEP_2) | instskip(NEXT) | instid1(VALU_DEP_2)
	v_add_nc_u32_e32 v21, v21, v24
	v_xor_b32_e32 v23, 1, v23
	s_delay_alu instid0(VALU_DEP_2) | instskip(NEXT) | instid1(VALU_DEP_1)
	v_and_b32_e32 v16, 0xfffff, v21
	v_add_nc_u32_e32 v21, v16, v24
                                        ; implicit-def: $vgpr16
	s_delay_alu instid0(VALU_DEP_3)
	v_cmpx_ne_u32_e64 v22, v23
	s_wait_alu 0xfffe
	s_xor_b32 s0, exec_lo, s0
; %bb.845:
	s_delay_alu instid0(VALU_DEP_2) | instskip(SKIP_3) | instid1(VALU_DEP_2)
	v_cmp_lt_u32_e32 vcc_lo, 0xffffff, v21
	v_sub_nc_u32_e32 v16, v22, v23
	s_wait_alu 0xfffd
	v_cndmask_b32_e64 v22, 0, 1, vcc_lo
	v_add_co_ci_u32_e64 v16, null, 0, v16, vcc_lo
	s_delay_alu instid0(VALU_DEP_2)
	v_lshrrev_b32_e32 v21, v22, v21
; %bb.846:
	s_wait_alu 0xfffe
	s_and_not1_saveexec_b32 s0, s0
; %bb.847:
	s_delay_alu instid0(VALU_DEP_1)
	v_bfe_u32 v16, v21, 23, 1
; %bb.848:
	s_wait_alu 0xfffe
	s_or_b32 exec_lo, exec_lo, s0
	v_lshrrev_b32_e32 v21, 20, v21
	s_delay_alu instid0(VALU_DEP_2) | instskip(SKIP_3) | instid1(VALU_DEP_2)
	v_cmp_gt_i32_e32 vcc_lo, 16, v16
	v_min_i32_e32 v22, 15, v16
	v_lshrrev_b32_e32 v17, 24, v17
	s_wait_alu 0xfffd
	v_dual_cndmask_b32 v21, 7, v21 :: v_dual_lshlrev_b32 v22, 3, v22
	s_delay_alu instid0(VALU_DEP_2) | instskip(NEXT) | instid1(VALU_DEP_2)
	v_and_b32_e32 v17, 0x80, v17
	v_or_b32_e32 v16, v16, v21
	v_and_b32_e32 v23, 7, v21
	s_delay_alu instid0(VALU_DEP_2) | instskip(SKIP_1) | instid1(VALU_DEP_1)
	v_cmp_ne_u32_e32 vcc_lo, 0, v16
	v_and_b32_e32 v22, 0xf8, v22
	v_or3_b32 v17, v17, v22, v23
	s_delay_alu instid0(VALU_DEP_1) | instskip(SKIP_1) | instid1(VALU_DEP_1)
	v_lshlrev_b32_e32 v17, 8, v17
	s_wait_alu 0xfffd
	v_cndmask_b32_e32 v21, 0, v17, vcc_lo
.LBB3_849:
	s_wait_alu 0xfffe
	s_or_b32 exec_lo, exec_lo, s6
.LBB3_850:
	s_delay_alu instid0(SALU_CYCLE_1) | instskip(SKIP_3) | instid1(VALU_DEP_2)
	s_or_b32 exec_lo, exec_lo, s2
	v_and_b32_e32 v16, 0x7f800000, v18
	v_mov_b32_e32 v22, 0x800000
	s_mov_b32 s2, exec_lo
	v_cmpx_ne_u32_e32 0x7f800000, v16
	s_cbranch_execz .LBB3_858
; %bb.851:
	v_mov_b32_e32 v22, 0
	s_mov_b32 s6, exec_lo
	v_cmpx_ne_u32_e32 0, v18
	s_cbranch_execz .LBB3_857
; %bb.852:
	v_bfe_u32 v16, v18, 23, 8
	v_and_b32_e32 v17, 0x7fffff, v18
	s_delay_alu instid0(VALU_DEP_2) | instskip(SKIP_1) | instid1(VALU_DEP_3)
	v_sub_nc_u32_e32 v22, 0x78, v16
	v_cmp_gt_u32_e32 vcc_lo, 0x79, v16
	v_or_b32_e32 v23, 0x800000, v17
	s_wait_alu 0xfffd
	s_delay_alu instid0(VALU_DEP_3) | instskip(SKIP_3) | instid1(VALU_DEP_3)
	v_cndmask_b32_e32 v22, 0, v22, vcc_lo
	v_cmp_eq_u32_e32 vcc_lo, 0, v16
	s_wait_alu 0xfffd
	v_dual_cndmask_b32 v17, v23, v17 :: v_dual_add_nc_u32 v16, 0xffffff89, v16
	v_cndmask_b32_e64 v22, v22, 0x77, vcc_lo
	s_delay_alu instid0(VALU_DEP_2) | instskip(NEXT) | instid1(VALU_DEP_2)
	v_cndmask_b32_e64 v16, v16, 0xffffff8a, vcc_lo
	v_lshrrev_b32_e32 v24, v22, v17
	v_lshl_add_u32 v23, 0x100000, v22, -1
	v_lshlrev_b32_e64 v26, v22, 0x80000
	s_delay_alu instid0(VALU_DEP_4) | instskip(NEXT) | instid1(VALU_DEP_4)
	v_add_nc_u32_e32 v22, v22, v16
	v_bfe_u32 v25, v24, 20, 1
	s_delay_alu instid0(VALU_DEP_4) | instskip(NEXT) | instid1(VALU_DEP_2)
	v_and_b32_e32 v17, v23, v17
	v_add_nc_u32_e32 v23, -1, v25
	s_delay_alu instid0(VALU_DEP_2) | instskip(SKIP_1) | instid1(VALU_DEP_1)
	v_cmp_eq_u32_e64 s0, v17, v26
	s_wait_alu 0xf1ff
	v_cndmask_b32_e64 v17, 0, v23, s0
	v_lshrrev_b32_e32 v23, 23, v24
	s_mov_b32 s0, exec_lo
	s_delay_alu instid0(VALU_DEP_2) | instskip(NEXT) | instid1(VALU_DEP_2)
	v_add_nc_u32_e32 v17, v17, v24
	v_xor_b32_e32 v23, 1, v23
	s_delay_alu instid0(VALU_DEP_2) | instskip(NEXT) | instid1(VALU_DEP_1)
	v_and_b32_e32 v16, 0xfffff, v17
	v_add_nc_u32_e32 v17, v16, v24
                                        ; implicit-def: $vgpr16
	s_delay_alu instid0(VALU_DEP_3)
	v_cmpx_ne_u32_e64 v22, v23
	s_wait_alu 0xfffe
	s_xor_b32 s0, exec_lo, s0
; %bb.853:
	s_delay_alu instid0(VALU_DEP_2) | instskip(SKIP_3) | instid1(VALU_DEP_2)
	v_cmp_lt_u32_e32 vcc_lo, 0xffffff, v17
	v_sub_nc_u32_e32 v16, v22, v23
	s_wait_alu 0xfffd
	v_cndmask_b32_e64 v22, 0, 1, vcc_lo
	v_add_co_ci_u32_e64 v16, null, 0, v16, vcc_lo
	s_delay_alu instid0(VALU_DEP_2)
	v_lshrrev_b32_e32 v17, v22, v17
; %bb.854:
	s_wait_alu 0xfffe
	s_and_not1_saveexec_b32 s0, s0
; %bb.855:
	s_delay_alu instid0(VALU_DEP_1)
	v_bfe_u32 v16, v17, 23, 1
; %bb.856:
	s_wait_alu 0xfffe
	s_or_b32 exec_lo, exec_lo, s0
	v_lshrrev_b32_e32 v17, 20, v17
	s_delay_alu instid0(VALU_DEP_2) | instskip(SKIP_3) | instid1(VALU_DEP_3)
	v_min_i32_e32 v22, 15, v16
	v_cmp_gt_i32_e32 vcc_lo, 16, v16
	v_lshrrev_b32_e32 v18, 24, v18
	s_wait_alu 0xfffd
	v_dual_cndmask_b32 v17, 7, v17 :: v_dual_lshlrev_b32 v22, 3, v22
	s_delay_alu instid0(VALU_DEP_2) | instskip(NEXT) | instid1(VALU_DEP_2)
	v_and_b32_e32 v18, 0x80, v18
	v_and_b32_e32 v22, 0xf8, v22
	s_delay_alu instid0(VALU_DEP_3) | instskip(SKIP_1) | instid1(VALU_DEP_2)
	v_and_b32_e32 v23, 7, v17
	v_or_b32_e32 v16, v16, v17
	v_or3_b32 v18, v18, v22, v23
	s_delay_alu instid0(VALU_DEP_2) | instskip(NEXT) | instid1(VALU_DEP_2)
	v_cmp_ne_u32_e32 vcc_lo, 0, v16
	v_lshlrev_b32_e32 v17, 16, v18
	s_wait_alu 0xfffd
	s_delay_alu instid0(VALU_DEP_1)
	v_cndmask_b32_e32 v22, 0, v17, vcc_lo
.LBB3_857:
	s_wait_alu 0xfffe
	s_or_b32 exec_lo, exec_lo, s6
.LBB3_858:
	s_delay_alu instid0(SALU_CYCLE_1) | instskip(SKIP_3) | instid1(VALU_DEP_2)
	s_or_b32 exec_lo, exec_lo, s2
	v_and_b32_e32 v16, 0x7f800000, v19
	v_bfrev_b32_e32 v23, 1
	s_mov_b32 s2, exec_lo
	v_cmpx_ne_u32_e32 0x7f800000, v16
	s_cbranch_execz .LBB3_866
; %bb.859:
	v_mov_b32_e32 v23, 0
	s_mov_b32 s6, exec_lo
	v_cmpx_ne_u32_e32 0, v19
	s_cbranch_execz .LBB3_865
; %bb.860:
	v_bfe_u32 v16, v19, 23, 8
	s_delay_alu instid0(VALU_DEP_1) | instskip(SKIP_2) | instid1(VALU_DEP_2)
	v_sub_nc_u32_e32 v18, 0x78, v16
	v_cmp_gt_u32_e32 vcc_lo, 0x79, v16
	s_wait_alu 0xfffd
	v_dual_cndmask_b32 v18, 0, v18 :: v_dual_and_b32 v17, 0x7fffff, v19
	s_delay_alu instid0(VALU_DEP_1) | instskip(SKIP_2) | instid1(VALU_DEP_2)
	v_or_b32_e32 v23, 0x800000, v17
	v_cmp_eq_u32_e32 vcc_lo, 0, v16
	s_wait_alu 0xfffd
	v_dual_cndmask_b32 v17, v23, v17 :: v_dual_add_nc_u32 v16, 0xffffff89, v16
	v_cndmask_b32_e64 v18, v18, 0x77, vcc_lo
	s_delay_alu instid0(VALU_DEP_2) | instskip(NEXT) | instid1(VALU_DEP_2)
	v_cndmask_b32_e64 v16, v16, 0xffffff8a, vcc_lo
	v_lshrrev_b32_e32 v24, v18, v17
	v_lshl_add_u32 v23, 0x100000, v18, -1
	v_lshlrev_b32_e64 v26, v18, 0x80000
	s_delay_alu instid0(VALU_DEP_4) | instskip(NEXT) | instid1(VALU_DEP_4)
	v_add_nc_u32_e32 v18, v18, v16
	v_bfe_u32 v25, v24, 20, 1
	s_delay_alu instid0(VALU_DEP_4) | instskip(NEXT) | instid1(VALU_DEP_2)
	v_and_b32_e32 v17, v23, v17
	v_add_nc_u32_e32 v23, -1, v25
	s_delay_alu instid0(VALU_DEP_2) | instskip(SKIP_1) | instid1(VALU_DEP_1)
	v_cmp_eq_u32_e64 s0, v17, v26
	s_wait_alu 0xf1ff
	v_cndmask_b32_e64 v17, 0, v23, s0
	v_lshrrev_b32_e32 v23, 23, v24
	s_mov_b32 s0, exec_lo
	s_delay_alu instid0(VALU_DEP_2) | instskip(NEXT) | instid1(VALU_DEP_2)
	v_add_nc_u32_e32 v17, v17, v24
	v_xor_b32_e32 v23, 1, v23
	s_delay_alu instid0(VALU_DEP_2) | instskip(NEXT) | instid1(VALU_DEP_1)
	v_and_b32_e32 v16, 0xfffff, v17
	v_add_nc_u32_e32 v17, v16, v24
                                        ; implicit-def: $vgpr16
	s_delay_alu instid0(VALU_DEP_3)
	v_cmpx_ne_u32_e64 v18, v23
	s_wait_alu 0xfffe
	s_xor_b32 s0, exec_lo, s0
; %bb.861:
	s_delay_alu instid0(VALU_DEP_2) | instskip(SKIP_3) | instid1(VALU_DEP_2)
	v_cmp_lt_u32_e32 vcc_lo, 0xffffff, v17
	v_sub_nc_u32_e32 v16, v18, v23
	s_wait_alu 0xfffd
	v_cndmask_b32_e64 v18, 0, 1, vcc_lo
	v_add_co_ci_u32_e64 v16, null, 0, v16, vcc_lo
	s_delay_alu instid0(VALU_DEP_2)
	v_lshrrev_b32_e32 v17, v18, v17
; %bb.862:
	s_wait_alu 0xfffe
	s_and_not1_saveexec_b32 s0, s0
; %bb.863:
	s_delay_alu instid0(VALU_DEP_1)
	v_bfe_u32 v16, v17, 23, 1
; %bb.864:
	s_wait_alu 0xfffe
	s_or_b32 exec_lo, exec_lo, s0
	v_lshrrev_b32_e32 v17, 20, v17
	s_delay_alu instid0(VALU_DEP_2) | instskip(SKIP_3) | instid1(VALU_DEP_2)
	v_cmp_gt_i32_e32 vcc_lo, 16, v16
	v_lshrrev_b32_e32 v18, 24, v19
	v_min_i32_e32 v19, 15, v16
	s_wait_alu 0xfffd
	v_dual_cndmask_b32 v17, 7, v17 :: v_dual_and_b32 v18, 0x80, v18
	s_delay_alu instid0(VALU_DEP_2) | instskip(NEXT) | instid1(VALU_DEP_2)
	v_lshlrev_b32_e32 v19, 3, v19
	v_and_b32_e32 v23, 7, v17
	v_or_b32_e32 v16, v16, v17
	s_delay_alu instid0(VALU_DEP_2) | instskip(NEXT) | instid1(VALU_DEP_2)
	v_or3_b32 v18, v18, v19, v23
	v_cmp_ne_u32_e32 vcc_lo, 0, v16
	s_delay_alu instid0(VALU_DEP_2) | instskip(SKIP_1) | instid1(VALU_DEP_1)
	v_lshlrev_b32_e32 v17, 24, v18
	s_wait_alu 0xfffd
	v_cndmask_b32_e32 v23, 0, v17, vcc_lo
.LBB3_865:
	s_wait_alu 0xfffe
	s_or_b32 exec_lo, exec_lo, s6
.LBB3_866:
	s_delay_alu instid0(SALU_CYCLE_1)
	s_or_b32 exec_lo, exec_lo, s2
	ds_load_b128 v[16:19], v208 offset:16
	v_or_b32_e32 v20, v21, v20
	v_wmma_f32_16x16x16_fp8_fp8 v[8:15], v[140:141], v[148:149], v[8:15]
	s_mov_b32 s0, s14
	s_mov_b32 s2, s5
	s_delay_alu instid0(VALU_DEP_2)
	v_or3_b32 v22, v22, v20, v23
	v_mov_b32_e32 v20, 0x80
	buffer_store_b32 v22, v28, s[0:3], null offen offset:64
	s_mov_b32 s2, exec_lo
	s_wait_dscnt 0x0
	v_and_b32_e32 v21, 0x7f800000, v16
	s_delay_alu instid0(VALU_DEP_1)
	v_cmpx_ne_u32_e32 0x7f800000, v21
	s_cbranch_execz .LBB3_874
; %bb.867:
	v_mov_b32_e32 v20, 0
	s_mov_b32 s6, exec_lo
	v_cmpx_ne_u32_e32 0, v16
	s_cbranch_execz .LBB3_873
; %bb.868:
	v_bfe_u32 v20, v16, 23, 8
	s_delay_alu instid0(VALU_DEP_1) | instskip(SKIP_2) | instid1(VALU_DEP_2)
	v_sub_nc_u32_e32 v22, 0x78, v20
	v_cmp_gt_u32_e32 vcc_lo, 0x79, v20
	s_wait_alu 0xfffd
	v_dual_cndmask_b32 v22, 0, v22 :: v_dual_and_b32 v21, 0x7fffff, v16
	s_delay_alu instid0(VALU_DEP_1) | instskip(SKIP_2) | instid1(VALU_DEP_2)
	v_or_b32_e32 v23, 0x800000, v21
	v_cmp_eq_u32_e32 vcc_lo, 0, v20
	s_wait_alu 0xfffd
	v_dual_cndmask_b32 v21, v23, v21 :: v_dual_add_nc_u32 v20, 0xffffff89, v20
	v_cndmask_b32_e64 v22, v22, 0x77, vcc_lo
	s_delay_alu instid0(VALU_DEP_2) | instskip(NEXT) | instid1(VALU_DEP_2)
	v_cndmask_b32_e64 v20, v20, 0xffffff8a, vcc_lo
	v_lshrrev_b32_e32 v24, v22, v21
	v_lshl_add_u32 v23, 0x100000, v22, -1
	v_lshlrev_b32_e64 v26, v22, 0x80000
	s_delay_alu instid0(VALU_DEP_4) | instskip(NEXT) | instid1(VALU_DEP_4)
	v_add_nc_u32_e32 v22, v22, v20
	v_bfe_u32 v25, v24, 20, 1
	s_delay_alu instid0(VALU_DEP_4) | instskip(NEXT) | instid1(VALU_DEP_2)
	v_and_b32_e32 v21, v23, v21
	v_add_nc_u32_e32 v23, -1, v25
	s_delay_alu instid0(VALU_DEP_2) | instskip(SKIP_1) | instid1(VALU_DEP_1)
	v_cmp_eq_u32_e64 s0, v21, v26
	s_wait_alu 0xf1ff
	v_cndmask_b32_e64 v21, 0, v23, s0
	v_lshrrev_b32_e32 v23, 23, v24
	s_mov_b32 s0, exec_lo
	s_delay_alu instid0(VALU_DEP_2) | instskip(NEXT) | instid1(VALU_DEP_2)
	v_add_nc_u32_e32 v21, v21, v24
	v_xor_b32_e32 v23, 1, v23
	s_delay_alu instid0(VALU_DEP_2) | instskip(NEXT) | instid1(VALU_DEP_1)
	v_and_b32_e32 v20, 0xfffff, v21
	v_add_nc_u32_e32 v21, v20, v24
                                        ; implicit-def: $vgpr20
	s_delay_alu instid0(VALU_DEP_3)
	v_cmpx_ne_u32_e64 v22, v23
	s_wait_alu 0xfffe
	s_xor_b32 s0, exec_lo, s0
; %bb.869:
	s_delay_alu instid0(VALU_DEP_2) | instskip(SKIP_3) | instid1(VALU_DEP_2)
	v_cmp_lt_u32_e32 vcc_lo, 0xffffff, v21
	v_sub_nc_u32_e32 v20, v22, v23
	s_wait_alu 0xfffd
	v_cndmask_b32_e64 v22, 0, 1, vcc_lo
	v_add_co_ci_u32_e64 v20, null, 0, v20, vcc_lo
	s_delay_alu instid0(VALU_DEP_2)
	v_lshrrev_b32_e32 v21, v22, v21
; %bb.870:
	s_wait_alu 0xfffe
	s_and_not1_saveexec_b32 s0, s0
; %bb.871:
	s_delay_alu instid0(VALU_DEP_1)
	v_bfe_u32 v20, v21, 23, 1
; %bb.872:
	s_wait_alu 0xfffe
	s_or_b32 exec_lo, exec_lo, s0
	v_lshrrev_b32_e32 v21, 20, v21
	s_delay_alu instid0(VALU_DEP_2) | instskip(SKIP_3) | instid1(VALU_DEP_2)
	v_cmp_gt_i32_e32 vcc_lo, 16, v20
	v_min_i32_e32 v22, 15, v20
	v_lshrrev_b32_e32 v16, 24, v16
	s_wait_alu 0xfffd
	v_dual_cndmask_b32 v21, 7, v21 :: v_dual_lshlrev_b32 v22, 3, v22
	s_delay_alu instid0(VALU_DEP_2) | instskip(NEXT) | instid1(VALU_DEP_2)
	v_and_b32_e32 v16, 0x80, v16
	v_or_b32_e32 v20, v20, v21
	s_delay_alu instid0(VALU_DEP_3) | instskip(NEXT) | instid1(VALU_DEP_2)
	v_and_b32_e32 v22, 0xf8, v22
	v_cmp_ne_u32_e32 vcc_lo, 0, v20
	v_and_b32_e32 v23, 7, v21
	s_delay_alu instid0(VALU_DEP_1) | instskip(SKIP_1) | instid1(VALU_DEP_1)
	v_or3_b32 v16, v22, v16, v23
	s_wait_alu 0xfffd
	v_cndmask_b32_e32 v20, 0, v16, vcc_lo
.LBB3_873:
	s_wait_alu 0xfffe
	s_or_b32 exec_lo, exec_lo, s6
.LBB3_874:
	s_delay_alu instid0(SALU_CYCLE_1) | instskip(SKIP_2) | instid1(VALU_DEP_2)
	s_or_b32 exec_lo, exec_lo, s2
	v_and_b32_e32 v16, 0x7f800000, v17
	v_wmma_f32_16x16x16_fp8_fp8 v[8:15], v[142:143], v[150:151], v[8:15]
	v_cmp_ne_u32_e32 vcc_lo, 0x7f800000, v16
	v_mov_b32_e32 v16, 0x8000
	s_and_saveexec_b32 s2, vcc_lo
	s_cbranch_execz .LBB3_882
; %bb.875:
	v_mov_b32_e32 v16, 0
	s_mov_b32 s6, exec_lo
	v_cmpx_ne_u32_e32 0, v17
	s_cbranch_execz .LBB3_881
; %bb.876:
	v_bfe_u32 v16, v17, 23, 8
	s_delay_alu instid0(VALU_DEP_1) | instskip(SKIP_2) | instid1(VALU_DEP_2)
	v_sub_nc_u32_e32 v22, 0x78, v16
	v_cmp_gt_u32_e32 vcc_lo, 0x79, v16
	s_wait_alu 0xfffd
	v_dual_cndmask_b32 v22, 0, v22 :: v_dual_and_b32 v21, 0x7fffff, v17
	s_delay_alu instid0(VALU_DEP_1) | instskip(SKIP_2) | instid1(VALU_DEP_2)
	v_or_b32_e32 v23, 0x800000, v21
	v_cmp_eq_u32_e32 vcc_lo, 0, v16
	s_wait_alu 0xfffd
	v_dual_cndmask_b32 v21, v23, v21 :: v_dual_add_nc_u32 v16, 0xffffff89, v16
	v_cndmask_b32_e64 v22, v22, 0x77, vcc_lo
	s_delay_alu instid0(VALU_DEP_2) | instskip(NEXT) | instid1(VALU_DEP_2)
	v_cndmask_b32_e64 v16, v16, 0xffffff8a, vcc_lo
	v_lshrrev_b32_e32 v24, v22, v21
	v_lshl_add_u32 v23, 0x100000, v22, -1
	v_lshlrev_b32_e64 v26, v22, 0x80000
	s_delay_alu instid0(VALU_DEP_4) | instskip(NEXT) | instid1(VALU_DEP_4)
	v_add_nc_u32_e32 v22, v22, v16
	v_bfe_u32 v25, v24, 20, 1
	s_delay_alu instid0(VALU_DEP_4) | instskip(NEXT) | instid1(VALU_DEP_2)
	v_and_b32_e32 v21, v23, v21
	v_add_nc_u32_e32 v23, -1, v25
	s_delay_alu instid0(VALU_DEP_2) | instskip(SKIP_1) | instid1(VALU_DEP_1)
	v_cmp_eq_u32_e64 s0, v21, v26
	s_wait_alu 0xf1ff
	v_cndmask_b32_e64 v21, 0, v23, s0
	v_lshrrev_b32_e32 v23, 23, v24
	s_mov_b32 s0, exec_lo
	s_delay_alu instid0(VALU_DEP_2) | instskip(NEXT) | instid1(VALU_DEP_2)
	v_add_nc_u32_e32 v21, v21, v24
	v_xor_b32_e32 v23, 1, v23
	s_delay_alu instid0(VALU_DEP_2) | instskip(NEXT) | instid1(VALU_DEP_1)
	v_and_b32_e32 v16, 0xfffff, v21
	v_add_nc_u32_e32 v21, v16, v24
                                        ; implicit-def: $vgpr16
	s_delay_alu instid0(VALU_DEP_3)
	v_cmpx_ne_u32_e64 v22, v23
	s_wait_alu 0xfffe
	s_xor_b32 s0, exec_lo, s0
; %bb.877:
	s_delay_alu instid0(VALU_DEP_2) | instskip(SKIP_3) | instid1(VALU_DEP_2)
	v_cmp_lt_u32_e32 vcc_lo, 0xffffff, v21
	v_sub_nc_u32_e32 v16, v22, v23
	s_wait_alu 0xfffd
	v_cndmask_b32_e64 v22, 0, 1, vcc_lo
	v_add_co_ci_u32_e64 v16, null, 0, v16, vcc_lo
	s_delay_alu instid0(VALU_DEP_2)
	v_lshrrev_b32_e32 v21, v22, v21
; %bb.878:
	s_wait_alu 0xfffe
	s_and_not1_saveexec_b32 s0, s0
; %bb.879:
	s_delay_alu instid0(VALU_DEP_1)
	v_bfe_u32 v16, v21, 23, 1
; %bb.880:
	s_wait_alu 0xfffe
	s_or_b32 exec_lo, exec_lo, s0
	v_lshrrev_b32_e32 v21, 20, v21
	s_delay_alu instid0(VALU_DEP_2) | instskip(SKIP_3) | instid1(VALU_DEP_3)
	v_min_i32_e32 v22, 15, v16
	v_cmp_gt_i32_e32 vcc_lo, 16, v16
	v_lshrrev_b32_e32 v17, 24, v17
	s_wait_alu 0xfffd
	v_dual_cndmask_b32 v21, 7, v21 :: v_dual_lshlrev_b32 v22, 3, v22
	s_delay_alu instid0(VALU_DEP_2) | instskip(NEXT) | instid1(VALU_DEP_2)
	v_and_b32_e32 v17, 0x80, v17
	v_and_b32_e32 v22, 0xf8, v22
	s_delay_alu instid0(VALU_DEP_3) | instskip(SKIP_1) | instid1(VALU_DEP_2)
	v_and_b32_e32 v23, 7, v21
	v_or_b32_e32 v16, v16, v21
	v_or3_b32 v17, v17, v22, v23
	s_delay_alu instid0(VALU_DEP_2) | instskip(NEXT) | instid1(VALU_DEP_2)
	v_cmp_ne_u32_e32 vcc_lo, 0, v16
	v_lshlrev_b32_e32 v17, 8, v17
	s_wait_alu 0xfffd
	s_delay_alu instid0(VALU_DEP_1)
	v_cndmask_b32_e32 v16, 0, v17, vcc_lo
.LBB3_881:
	s_wait_alu 0xfffe
	s_or_b32 exec_lo, exec_lo, s6
.LBB3_882:
	s_delay_alu instid0(SALU_CYCLE_1) | instskip(SKIP_2) | instid1(VALU_DEP_2)
	s_or_b32 exec_lo, exec_lo, s2
	v_and_b32_e32 v17, 0x7f800000, v18
	v_wmma_f32_16x16x16_fp8_fp8 v[8:15], v[132:133], v[144:145], v[8:15]
	v_cmp_ne_u32_e32 vcc_lo, 0x7f800000, v17
	v_mov_b32_e32 v17, 0x800000
	s_and_saveexec_b32 s2, vcc_lo
	s_cbranch_execz .LBB3_890
; %bb.883:
	v_mov_b32_e32 v17, 0
	s_mov_b32 s6, exec_lo
	v_cmpx_ne_u32_e32 0, v18
	s_cbranch_execz .LBB3_889
; %bb.884:
	v_bfe_u32 v17, v18, 23, 8
	v_and_b32_e32 v21, 0x7fffff, v18
	s_delay_alu instid0(VALU_DEP_2) | instskip(SKIP_1) | instid1(VALU_DEP_3)
	v_sub_nc_u32_e32 v22, 0x78, v17
	v_cmp_gt_u32_e32 vcc_lo, 0x79, v17
	v_or_b32_e32 v23, 0x800000, v21
	s_wait_alu 0xfffd
	s_delay_alu instid0(VALU_DEP_3)
	v_cndmask_b32_e32 v22, 0, v22, vcc_lo
	v_cmp_eq_u32_e32 vcc_lo, 0, v17
	v_add_nc_u32_e32 v17, 0xffffff89, v17
	s_wait_alu 0xfffd
	v_cndmask_b32_e32 v21, v23, v21, vcc_lo
	v_cndmask_b32_e64 v22, v22, 0x77, vcc_lo
	s_delay_alu instid0(VALU_DEP_3) | instskip(NEXT) | instid1(VALU_DEP_2)
	v_cndmask_b32_e64 v17, v17, 0xffffff8a, vcc_lo
	v_lshrrev_b32_e32 v24, v22, v21
	v_lshl_add_u32 v23, 0x100000, v22, -1
	v_lshlrev_b32_e64 v26, v22, 0x80000
	s_delay_alu instid0(VALU_DEP_4) | instskip(NEXT) | instid1(VALU_DEP_4)
	v_add_nc_u32_e32 v22, v22, v17
	v_bfe_u32 v25, v24, 20, 1
	s_delay_alu instid0(VALU_DEP_4) | instskip(NEXT) | instid1(VALU_DEP_2)
	v_and_b32_e32 v21, v23, v21
	v_add_nc_u32_e32 v23, -1, v25
	s_delay_alu instid0(VALU_DEP_2) | instskip(SKIP_1) | instid1(VALU_DEP_1)
	v_cmp_eq_u32_e64 s0, v21, v26
	s_wait_alu 0xf1ff
	v_cndmask_b32_e64 v21, 0, v23, s0
	v_lshrrev_b32_e32 v23, 23, v24
	s_mov_b32 s0, exec_lo
	s_delay_alu instid0(VALU_DEP_2) | instskip(NEXT) | instid1(VALU_DEP_2)
	v_add_nc_u32_e32 v21, v21, v24
	v_xor_b32_e32 v23, 1, v23
	s_delay_alu instid0(VALU_DEP_2) | instskip(NEXT) | instid1(VALU_DEP_1)
	v_and_b32_e32 v17, 0xfffff, v21
	v_add_nc_u32_e32 v21, v17, v24
                                        ; implicit-def: $vgpr17
	s_delay_alu instid0(VALU_DEP_3)
	v_cmpx_ne_u32_e64 v22, v23
	s_wait_alu 0xfffe
	s_xor_b32 s0, exec_lo, s0
; %bb.885:
	s_delay_alu instid0(VALU_DEP_2) | instskip(SKIP_3) | instid1(VALU_DEP_2)
	v_cmp_lt_u32_e32 vcc_lo, 0xffffff, v21
	v_sub_nc_u32_e32 v17, v22, v23
	s_wait_alu 0xfffd
	v_cndmask_b32_e64 v22, 0, 1, vcc_lo
	v_add_co_ci_u32_e64 v17, null, 0, v17, vcc_lo
	s_delay_alu instid0(VALU_DEP_2)
	v_lshrrev_b32_e32 v21, v22, v21
; %bb.886:
	s_wait_alu 0xfffe
	s_and_not1_saveexec_b32 s0, s0
; %bb.887:
	s_delay_alu instid0(VALU_DEP_1)
	v_bfe_u32 v17, v21, 23, 1
; %bb.888:
	s_wait_alu 0xfffe
	s_or_b32 exec_lo, exec_lo, s0
	v_lshrrev_b32_e32 v21, 20, v21
	s_delay_alu instid0(VALU_DEP_2) | instskip(SKIP_3) | instid1(VALU_DEP_3)
	v_min_i32_e32 v22, 15, v17
	v_cmp_gt_i32_e32 vcc_lo, 16, v17
	v_lshrrev_b32_e32 v18, 24, v18
	s_wait_alu 0xfffd
	v_dual_cndmask_b32 v21, 7, v21 :: v_dual_lshlrev_b32 v22, 3, v22
	s_delay_alu instid0(VALU_DEP_2) | instskip(NEXT) | instid1(VALU_DEP_2)
	v_and_b32_e32 v18, 0x80, v18
	v_and_b32_e32 v22, 0xf8, v22
	s_delay_alu instid0(VALU_DEP_3) | instskip(SKIP_1) | instid1(VALU_DEP_2)
	v_and_b32_e32 v23, 7, v21
	v_or_b32_e32 v17, v17, v21
	v_or3_b32 v18, v18, v22, v23
	s_delay_alu instid0(VALU_DEP_2) | instskip(NEXT) | instid1(VALU_DEP_2)
	v_cmp_ne_u32_e32 vcc_lo, 0, v17
	v_lshlrev_b32_e32 v18, 16, v18
	s_wait_alu 0xfffd
	s_delay_alu instid0(VALU_DEP_1)
	v_cndmask_b32_e32 v17, 0, v18, vcc_lo
.LBB3_889:
	s_wait_alu 0xfffe
	s_or_b32 exec_lo, exec_lo, s6
.LBB3_890:
	s_delay_alu instid0(SALU_CYCLE_1) | instskip(SKIP_2) | instid1(VALU_DEP_2)
	s_or_b32 exec_lo, exec_lo, s2
	v_and_b32_e32 v18, 0x7f800000, v19
	v_wmma_f32_16x16x16_fp8_fp8 v[8:15], v[134:135], v[146:147], v[8:15]
	v_cmp_ne_u32_e32 vcc_lo, 0x7f800000, v18
	v_bfrev_b32_e32 v18, 1
	s_and_saveexec_b32 s2, vcc_lo
	s_cbranch_execz .LBB3_898
; %bb.891:
	v_mov_b32_e32 v18, 0
	s_mov_b32 s6, exec_lo
	v_cmpx_ne_u32_e32 0, v19
	s_cbranch_execz .LBB3_897
; %bb.892:
	v_bfe_u32 v18, v19, 23, 8
	s_delay_alu instid0(VALU_DEP_1) | instskip(SKIP_2) | instid1(VALU_DEP_2)
	v_sub_nc_u32_e32 v22, 0x78, v18
	v_cmp_gt_u32_e32 vcc_lo, 0x79, v18
	s_wait_alu 0xfffd
	v_dual_cndmask_b32 v22, 0, v22 :: v_dual_and_b32 v21, 0x7fffff, v19
	s_delay_alu instid0(VALU_DEP_1) | instskip(SKIP_2) | instid1(VALU_DEP_2)
	v_or_b32_e32 v23, 0x800000, v21
	v_cmp_eq_u32_e32 vcc_lo, 0, v18
	s_wait_alu 0xfffd
	v_dual_cndmask_b32 v21, v23, v21 :: v_dual_add_nc_u32 v18, 0xffffff89, v18
	v_cndmask_b32_e64 v22, v22, 0x77, vcc_lo
	s_delay_alu instid0(VALU_DEP_2) | instskip(NEXT) | instid1(VALU_DEP_2)
	v_cndmask_b32_e64 v18, v18, 0xffffff8a, vcc_lo
	v_lshrrev_b32_e32 v24, v22, v21
	v_lshl_add_u32 v23, 0x100000, v22, -1
	v_lshlrev_b32_e64 v26, v22, 0x80000
	s_delay_alu instid0(VALU_DEP_4) | instskip(NEXT) | instid1(VALU_DEP_4)
	v_add_nc_u32_e32 v22, v22, v18
	v_bfe_u32 v25, v24, 20, 1
	s_delay_alu instid0(VALU_DEP_4) | instskip(NEXT) | instid1(VALU_DEP_2)
	v_and_b32_e32 v21, v23, v21
	v_add_nc_u32_e32 v23, -1, v25
	s_delay_alu instid0(VALU_DEP_2) | instskip(SKIP_1) | instid1(VALU_DEP_1)
	v_cmp_eq_u32_e64 s0, v21, v26
	s_wait_alu 0xf1ff
	v_cndmask_b32_e64 v21, 0, v23, s0
	v_lshrrev_b32_e32 v23, 23, v24
	s_mov_b32 s0, exec_lo
	s_delay_alu instid0(VALU_DEP_2) | instskip(NEXT) | instid1(VALU_DEP_2)
	v_add_nc_u32_e32 v21, v21, v24
	v_xor_b32_e32 v23, 1, v23
	s_delay_alu instid0(VALU_DEP_2) | instskip(NEXT) | instid1(VALU_DEP_1)
	v_and_b32_e32 v18, 0xfffff, v21
	v_add_nc_u32_e32 v21, v18, v24
                                        ; implicit-def: $vgpr18
	s_delay_alu instid0(VALU_DEP_3)
	v_cmpx_ne_u32_e64 v22, v23
	s_wait_alu 0xfffe
	s_xor_b32 s0, exec_lo, s0
; %bb.893:
	s_delay_alu instid0(VALU_DEP_2) | instskip(SKIP_3) | instid1(VALU_DEP_2)
	v_cmp_lt_u32_e32 vcc_lo, 0xffffff, v21
	v_sub_nc_u32_e32 v18, v22, v23
	s_wait_alu 0xfffd
	v_cndmask_b32_e64 v22, 0, 1, vcc_lo
	v_add_co_ci_u32_e64 v18, null, 0, v18, vcc_lo
	s_delay_alu instid0(VALU_DEP_2)
	v_lshrrev_b32_e32 v21, v22, v21
; %bb.894:
	s_wait_alu 0xfffe
	s_and_not1_saveexec_b32 s0, s0
; %bb.895:
	s_delay_alu instid0(VALU_DEP_1)
	v_bfe_u32 v18, v21, 23, 1
; %bb.896:
	s_wait_alu 0xfffe
	s_or_b32 exec_lo, exec_lo, s0
	v_lshrrev_b32_e32 v21, 20, v21
	s_delay_alu instid0(VALU_DEP_2) | instskip(SKIP_3) | instid1(VALU_DEP_2)
	v_cmp_gt_i32_e32 vcc_lo, 16, v18
	v_min_i32_e32 v22, 15, v18
	v_lshrrev_b32_e32 v19, 24, v19
	s_wait_alu 0xfffd
	v_dual_cndmask_b32 v21, 7, v21 :: v_dual_lshlrev_b32 v22, 3, v22
	s_delay_alu instid0(VALU_DEP_2) | instskip(NEXT) | instid1(VALU_DEP_2)
	v_and_b32_e32 v19, 0x80, v19
	v_or_b32_e32 v18, v18, v21
	s_delay_alu instid0(VALU_DEP_1) | instskip(SKIP_1) | instid1(VALU_DEP_1)
	v_cmp_ne_u32_e32 vcc_lo, 0, v18
	v_and_b32_e32 v23, 7, v21
	v_or3_b32 v19, v19, v22, v23
	s_delay_alu instid0(VALU_DEP_1) | instskip(SKIP_1) | instid1(VALU_DEP_1)
	v_lshlrev_b32_e32 v19, 24, v19
	s_wait_alu 0xfffd
	v_cndmask_b32_e32 v18, 0, v19, vcc_lo
.LBB3_897:
	s_wait_alu 0xfffe
	s_or_b32 exec_lo, exec_lo, s6
.LBB3_898:
	s_delay_alu instid0(SALU_CYCLE_1) | instskip(SKIP_3) | instid1(VALU_DEP_1)
	s_or_b32 exec_lo, exec_lo, s2
	v_or_b32_e32 v16, v16, v20
	s_mov_b32 s0, s14
	s_mov_b32 s2, s5
	v_or3_b32 v16, v17, v16, v18
	buffer_store_b32 v16, v28, s[0:3], null offen offset:68
	s_wait_dscnt 0x0
	s_barrier_signal -1
	s_barrier_wait -1
	ds_store_2addr_stride64_b32 v209, v8, v9 offset1:1
	ds_store_2addr_stride64_b32 v209, v10, v11 offset0:2 offset1:3
	ds_store_2addr_stride64_b32 v209, v12, v13 offset0:4 offset1:5
	;; [unrolled: 1-line block ×3, first 2 shown]
	s_wait_dscnt 0x0
	s_barrier_signal -1
	s_barrier_wait -1
	ds_load_b128 v[8:11], v208
	s_wait_dscnt 0x0
	v_and_b32_e32 v12, 0x7f800000, v8
	s_delay_alu instid0(VALU_DEP_1)
	v_cmp_ne_u32_e32 vcc_lo, 0x7f800000, v12
	v_mov_b32_e32 v12, 0x80
	s_and_saveexec_b32 s2, vcc_lo
	s_cbranch_execz .LBB3_906
; %bb.899:
	v_mov_b32_e32 v12, 0
	s_mov_b32 s6, exec_lo
	v_cmpx_ne_u32_e32 0, v8
	s_cbranch_execz .LBB3_905
; %bb.900:
	v_bfe_u32 v12, v8, 23, 8
	s_delay_alu instid0(VALU_DEP_1) | instskip(SKIP_2) | instid1(VALU_DEP_2)
	v_sub_nc_u32_e32 v14, 0x78, v12
	v_cmp_gt_u32_e32 vcc_lo, 0x79, v12
	s_wait_alu 0xfffd
	v_dual_cndmask_b32 v14, 0, v14 :: v_dual_and_b32 v13, 0x7fffff, v8
	s_delay_alu instid0(VALU_DEP_1) | instskip(SKIP_2) | instid1(VALU_DEP_2)
	v_or_b32_e32 v15, 0x800000, v13
	v_cmp_eq_u32_e32 vcc_lo, 0, v12
	s_wait_alu 0xfffd
	v_dual_cndmask_b32 v13, v15, v13 :: v_dual_add_nc_u32 v12, 0xffffff89, v12
	v_cndmask_b32_e64 v14, v14, 0x77, vcc_lo
	s_delay_alu instid0(VALU_DEP_2) | instskip(NEXT) | instid1(VALU_DEP_2)
	v_cndmask_b32_e64 v12, v12, 0xffffff8a, vcc_lo
	v_lshrrev_b32_e32 v16, v14, v13
	v_lshl_add_u32 v15, 0x100000, v14, -1
	v_lshlrev_b32_e64 v18, v14, 0x80000
	s_delay_alu instid0(VALU_DEP_4) | instskip(NEXT) | instid1(VALU_DEP_4)
	v_add_nc_u32_e32 v14, v14, v12
	v_bfe_u32 v17, v16, 20, 1
	s_delay_alu instid0(VALU_DEP_4) | instskip(NEXT) | instid1(VALU_DEP_2)
	v_and_b32_e32 v13, v15, v13
	v_add_nc_u32_e32 v15, -1, v17
	s_delay_alu instid0(VALU_DEP_2) | instskip(SKIP_1) | instid1(VALU_DEP_1)
	v_cmp_eq_u32_e64 s0, v13, v18
	s_wait_alu 0xf1ff
	v_cndmask_b32_e64 v13, 0, v15, s0
	v_lshrrev_b32_e32 v15, 23, v16
	s_mov_b32 s0, exec_lo
	s_delay_alu instid0(VALU_DEP_2) | instskip(NEXT) | instid1(VALU_DEP_2)
	v_add_nc_u32_e32 v13, v13, v16
	v_xor_b32_e32 v15, 1, v15
	s_delay_alu instid0(VALU_DEP_2) | instskip(NEXT) | instid1(VALU_DEP_1)
	v_and_b32_e32 v12, 0xfffff, v13
	v_add_nc_u32_e32 v13, v12, v16
                                        ; implicit-def: $vgpr12
	s_delay_alu instid0(VALU_DEP_3)
	v_cmpx_ne_u32_e64 v14, v15
	s_wait_alu 0xfffe
	s_xor_b32 s0, exec_lo, s0
; %bb.901:
	s_delay_alu instid0(VALU_DEP_2) | instskip(SKIP_3) | instid1(VALU_DEP_2)
	v_cmp_lt_u32_e32 vcc_lo, 0xffffff, v13
	v_sub_nc_u32_e32 v12, v14, v15
	s_wait_alu 0xfffd
	v_cndmask_b32_e64 v14, 0, 1, vcc_lo
	v_add_co_ci_u32_e64 v12, null, 0, v12, vcc_lo
	s_delay_alu instid0(VALU_DEP_2)
	v_lshrrev_b32_e32 v13, v14, v13
; %bb.902:
	s_wait_alu 0xfffe
	s_and_not1_saveexec_b32 s0, s0
; %bb.903:
	s_delay_alu instid0(VALU_DEP_1)
	v_bfe_u32 v12, v13, 23, 1
; %bb.904:
	s_wait_alu 0xfffe
	s_or_b32 exec_lo, exec_lo, s0
	v_lshrrev_b32_e32 v13, 20, v13
	s_delay_alu instid0(VALU_DEP_2) | instskip(SKIP_3) | instid1(VALU_DEP_2)
	v_cmp_gt_i32_e32 vcc_lo, 16, v12
	v_min_i32_e32 v14, 15, v12
	v_lshrrev_b32_e32 v8, 24, v8
	s_wait_alu 0xfffd
	v_dual_cndmask_b32 v13, 7, v13 :: v_dual_lshlrev_b32 v14, 3, v14
	s_delay_alu instid0(VALU_DEP_2) | instskip(NEXT) | instid1(VALU_DEP_2)
	v_and_b32_e32 v8, 0x80, v8
	v_or_b32_e32 v12, v12, v13
	s_delay_alu instid0(VALU_DEP_3) | instskip(NEXT) | instid1(VALU_DEP_2)
	v_and_b32_e32 v14, 0xf8, v14
	v_cmp_ne_u32_e32 vcc_lo, 0, v12
	v_and_b32_e32 v15, 7, v13
	s_delay_alu instid0(VALU_DEP_1) | instskip(SKIP_1) | instid1(VALU_DEP_1)
	v_or3_b32 v8, v14, v8, v15
	s_wait_alu 0xfffd
	v_cndmask_b32_e32 v12, 0, v8, vcc_lo
.LBB3_905:
	s_wait_alu 0xfffe
	s_or_b32 exec_lo, exec_lo, s6
.LBB3_906:
	s_delay_alu instid0(SALU_CYCLE_1) | instskip(SKIP_3) | instid1(VALU_DEP_2)
	s_or_b32 exec_lo, exec_lo, s2
	v_and_b32_e32 v8, 0x7f800000, v9
	v_mov_b32_e32 v13, 0x8000
	s_mov_b32 s2, exec_lo
	v_cmpx_ne_u32_e32 0x7f800000, v8
	s_cbranch_execz .LBB3_914
; %bb.907:
	v_mov_b32_e32 v13, 0
	s_mov_b32 s6, exec_lo
	v_cmpx_ne_u32_e32 0, v9
	s_cbranch_execz .LBB3_913
; %bb.908:
	v_bfe_u32 v8, v9, 23, 8
	s_delay_alu instid0(VALU_DEP_1) | instskip(SKIP_2) | instid1(VALU_DEP_2)
	v_sub_nc_u32_e32 v14, 0x78, v8
	v_cmp_gt_u32_e32 vcc_lo, 0x79, v8
	s_wait_alu 0xfffd
	v_dual_cndmask_b32 v14, 0, v14 :: v_dual_and_b32 v13, 0x7fffff, v9
	s_delay_alu instid0(VALU_DEP_1) | instskip(SKIP_2) | instid1(VALU_DEP_2)
	v_or_b32_e32 v15, 0x800000, v13
	v_cmp_eq_u32_e32 vcc_lo, 0, v8
	s_wait_alu 0xfffd
	v_dual_cndmask_b32 v13, v15, v13 :: v_dual_add_nc_u32 v8, 0xffffff89, v8
	v_cndmask_b32_e64 v14, v14, 0x77, vcc_lo
	s_delay_alu instid0(VALU_DEP_2) | instskip(NEXT) | instid1(VALU_DEP_2)
	v_cndmask_b32_e64 v8, v8, 0xffffff8a, vcc_lo
	v_lshrrev_b32_e32 v16, v14, v13
	v_lshl_add_u32 v15, 0x100000, v14, -1
	v_lshlrev_b32_e64 v18, v14, 0x80000
	s_delay_alu instid0(VALU_DEP_4) | instskip(NEXT) | instid1(VALU_DEP_4)
	v_add_nc_u32_e32 v14, v14, v8
	v_bfe_u32 v17, v16, 20, 1
	s_delay_alu instid0(VALU_DEP_4) | instskip(NEXT) | instid1(VALU_DEP_2)
	v_and_b32_e32 v13, v15, v13
	v_add_nc_u32_e32 v15, -1, v17
	s_delay_alu instid0(VALU_DEP_2) | instskip(SKIP_1) | instid1(VALU_DEP_1)
	v_cmp_eq_u32_e64 s0, v13, v18
	s_wait_alu 0xf1ff
	v_cndmask_b32_e64 v13, 0, v15, s0
	v_lshrrev_b32_e32 v15, 23, v16
	s_mov_b32 s0, exec_lo
	s_delay_alu instid0(VALU_DEP_2) | instskip(NEXT) | instid1(VALU_DEP_2)
	v_add_nc_u32_e32 v13, v13, v16
	v_xor_b32_e32 v15, 1, v15
	s_delay_alu instid0(VALU_DEP_2) | instskip(NEXT) | instid1(VALU_DEP_1)
	v_and_b32_e32 v8, 0xfffff, v13
	v_add_nc_u32_e32 v13, v8, v16
                                        ; implicit-def: $vgpr8
	s_delay_alu instid0(VALU_DEP_3)
	v_cmpx_ne_u32_e64 v14, v15
	s_wait_alu 0xfffe
	s_xor_b32 s0, exec_lo, s0
; %bb.909:
	s_delay_alu instid0(VALU_DEP_2) | instskip(SKIP_3) | instid1(VALU_DEP_2)
	v_cmp_lt_u32_e32 vcc_lo, 0xffffff, v13
	v_sub_nc_u32_e32 v8, v14, v15
	s_wait_alu 0xfffd
	v_cndmask_b32_e64 v14, 0, 1, vcc_lo
	v_add_co_ci_u32_e64 v8, null, 0, v8, vcc_lo
	s_delay_alu instid0(VALU_DEP_2)
	v_lshrrev_b32_e32 v13, v14, v13
; %bb.910:
	s_wait_alu 0xfffe
	s_and_not1_saveexec_b32 s0, s0
; %bb.911:
	s_delay_alu instid0(VALU_DEP_1)
	v_bfe_u32 v8, v13, 23, 1
; %bb.912:
	s_wait_alu 0xfffe
	s_or_b32 exec_lo, exec_lo, s0
	v_lshrrev_b32_e32 v13, 20, v13
	s_delay_alu instid0(VALU_DEP_2) | instskip(SKIP_3) | instid1(VALU_DEP_2)
	v_cmp_gt_i32_e32 vcc_lo, 16, v8
	v_min_i32_e32 v14, 15, v8
	v_lshrrev_b32_e32 v9, 24, v9
	s_wait_alu 0xfffd
	v_dual_cndmask_b32 v13, 7, v13 :: v_dual_lshlrev_b32 v14, 3, v14
	s_delay_alu instid0(VALU_DEP_2) | instskip(NEXT) | instid1(VALU_DEP_2)
	v_and_b32_e32 v9, 0x80, v9
	v_or_b32_e32 v8, v8, v13
	v_and_b32_e32 v15, 7, v13
	s_delay_alu instid0(VALU_DEP_2) | instskip(SKIP_1) | instid1(VALU_DEP_1)
	v_cmp_ne_u32_e32 vcc_lo, 0, v8
	v_and_b32_e32 v14, 0xf8, v14
	v_or3_b32 v9, v9, v14, v15
	s_delay_alu instid0(VALU_DEP_1) | instskip(SKIP_1) | instid1(VALU_DEP_1)
	v_lshlrev_b32_e32 v9, 8, v9
	s_wait_alu 0xfffd
	v_cndmask_b32_e32 v13, 0, v9, vcc_lo
.LBB3_913:
	s_wait_alu 0xfffe
	s_or_b32 exec_lo, exec_lo, s6
.LBB3_914:
	s_delay_alu instid0(SALU_CYCLE_1) | instskip(SKIP_3) | instid1(VALU_DEP_2)
	s_or_b32 exec_lo, exec_lo, s2
	v_and_b32_e32 v8, 0x7f800000, v10
	v_mov_b32_e32 v14, 0x800000
	s_mov_b32 s2, exec_lo
	v_cmpx_ne_u32_e32 0x7f800000, v8
	s_cbranch_execz .LBB3_922
; %bb.915:
	v_mov_b32_e32 v14, 0
	s_mov_b32 s6, exec_lo
	v_cmpx_ne_u32_e32 0, v10
	s_cbranch_execz .LBB3_921
; %bb.916:
	v_bfe_u32 v8, v10, 23, 8
	v_and_b32_e32 v9, 0x7fffff, v10
	s_delay_alu instid0(VALU_DEP_2) | instskip(SKIP_1) | instid1(VALU_DEP_3)
	v_sub_nc_u32_e32 v14, 0x78, v8
	v_cmp_gt_u32_e32 vcc_lo, 0x79, v8
	v_or_b32_e32 v15, 0x800000, v9
	s_wait_alu 0xfffd
	s_delay_alu instid0(VALU_DEP_3) | instskip(SKIP_3) | instid1(VALU_DEP_3)
	v_cndmask_b32_e32 v14, 0, v14, vcc_lo
	v_cmp_eq_u32_e32 vcc_lo, 0, v8
	s_wait_alu 0xfffd
	v_dual_cndmask_b32 v9, v15, v9 :: v_dual_add_nc_u32 v8, 0xffffff89, v8
	v_cndmask_b32_e64 v14, v14, 0x77, vcc_lo
	s_delay_alu instid0(VALU_DEP_2) | instskip(NEXT) | instid1(VALU_DEP_2)
	v_cndmask_b32_e64 v8, v8, 0xffffff8a, vcc_lo
	v_lshrrev_b32_e32 v16, v14, v9
	v_lshl_add_u32 v15, 0x100000, v14, -1
	v_lshlrev_b32_e64 v18, v14, 0x80000
	s_delay_alu instid0(VALU_DEP_4) | instskip(NEXT) | instid1(VALU_DEP_4)
	v_add_nc_u32_e32 v14, v14, v8
	v_bfe_u32 v17, v16, 20, 1
	s_delay_alu instid0(VALU_DEP_4) | instskip(NEXT) | instid1(VALU_DEP_2)
	v_and_b32_e32 v9, v15, v9
	v_add_nc_u32_e32 v15, -1, v17
	s_delay_alu instid0(VALU_DEP_2) | instskip(SKIP_1) | instid1(VALU_DEP_1)
	v_cmp_eq_u32_e64 s0, v9, v18
	s_wait_alu 0xf1ff
	v_cndmask_b32_e64 v9, 0, v15, s0
	v_lshrrev_b32_e32 v15, 23, v16
	s_mov_b32 s0, exec_lo
	s_delay_alu instid0(VALU_DEP_2) | instskip(NEXT) | instid1(VALU_DEP_2)
	v_add_nc_u32_e32 v9, v9, v16
	v_xor_b32_e32 v15, 1, v15
	s_delay_alu instid0(VALU_DEP_2) | instskip(NEXT) | instid1(VALU_DEP_1)
	v_and_b32_e32 v8, 0xfffff, v9
	v_add_nc_u32_e32 v9, v8, v16
                                        ; implicit-def: $vgpr8
	s_delay_alu instid0(VALU_DEP_3)
	v_cmpx_ne_u32_e64 v14, v15
	s_wait_alu 0xfffe
	s_xor_b32 s0, exec_lo, s0
; %bb.917:
	s_delay_alu instid0(VALU_DEP_2) | instskip(SKIP_3) | instid1(VALU_DEP_2)
	v_cmp_lt_u32_e32 vcc_lo, 0xffffff, v9
	v_sub_nc_u32_e32 v8, v14, v15
	s_wait_alu 0xfffd
	v_cndmask_b32_e64 v14, 0, 1, vcc_lo
	v_add_co_ci_u32_e64 v8, null, 0, v8, vcc_lo
	s_delay_alu instid0(VALU_DEP_2)
	v_lshrrev_b32_e32 v9, v14, v9
; %bb.918:
	s_wait_alu 0xfffe
	s_and_not1_saveexec_b32 s0, s0
; %bb.919:
	s_delay_alu instid0(VALU_DEP_1)
	v_bfe_u32 v8, v9, 23, 1
; %bb.920:
	s_wait_alu 0xfffe
	s_or_b32 exec_lo, exec_lo, s0
	v_lshrrev_b32_e32 v9, 20, v9
	s_delay_alu instid0(VALU_DEP_2) | instskip(SKIP_3) | instid1(VALU_DEP_3)
	v_min_i32_e32 v14, 15, v8
	v_cmp_gt_i32_e32 vcc_lo, 16, v8
	v_lshrrev_b32_e32 v10, 24, v10
	s_wait_alu 0xfffd
	v_dual_cndmask_b32 v9, 7, v9 :: v_dual_lshlrev_b32 v14, 3, v14
	s_delay_alu instid0(VALU_DEP_2) | instskip(NEXT) | instid1(VALU_DEP_2)
	v_and_b32_e32 v10, 0x80, v10
	v_and_b32_e32 v14, 0xf8, v14
	s_delay_alu instid0(VALU_DEP_3) | instskip(SKIP_1) | instid1(VALU_DEP_2)
	v_and_b32_e32 v15, 7, v9
	v_or_b32_e32 v8, v8, v9
	v_or3_b32 v10, v10, v14, v15
	s_delay_alu instid0(VALU_DEP_2) | instskip(NEXT) | instid1(VALU_DEP_2)
	v_cmp_ne_u32_e32 vcc_lo, 0, v8
	v_lshlrev_b32_e32 v9, 16, v10
	s_wait_alu 0xfffd
	s_delay_alu instid0(VALU_DEP_1)
	v_cndmask_b32_e32 v14, 0, v9, vcc_lo
.LBB3_921:
	s_wait_alu 0xfffe
	s_or_b32 exec_lo, exec_lo, s6
.LBB3_922:
	s_delay_alu instid0(SALU_CYCLE_1) | instskip(SKIP_4) | instid1(VALU_DEP_3)
	s_or_b32 exec_lo, exec_lo, s2
	v_and_b32_e32 v8, 0x7f800000, v11
	v_add_nc_u32_e32 v15, 64, v28
	v_bfrev_b32_e32 v16, 1
	s_mov_b32 s2, exec_lo
	v_cmpx_ne_u32_e32 0x7f800000, v8
	s_cbranch_execz .LBB3_930
; %bb.923:
	v_mov_b32_e32 v16, 0
	s_mov_b32 s6, exec_lo
	v_cmpx_ne_u32_e32 0, v11
	s_cbranch_execz .LBB3_929
; %bb.924:
	v_bfe_u32 v8, v11, 23, 8
	s_delay_alu instid0(VALU_DEP_1) | instskip(SKIP_2) | instid1(VALU_DEP_2)
	v_sub_nc_u32_e32 v10, 0x78, v8
	v_cmp_gt_u32_e32 vcc_lo, 0x79, v8
	s_wait_alu 0xfffd
	v_dual_cndmask_b32 v10, 0, v10 :: v_dual_and_b32 v9, 0x7fffff, v11
	s_delay_alu instid0(VALU_DEP_1)
	v_or_b32_e32 v16, 0x800000, v9
	v_cmp_eq_u32_e32 vcc_lo, 0, v8
	v_add_nc_u32_e32 v8, 0xffffff89, v8
	s_wait_alu 0xfffd
	v_cndmask_b32_e64 v10, v10, 0x77, vcc_lo
	v_cndmask_b32_e32 v9, v16, v9, vcc_lo
	s_delay_alu instid0(VALU_DEP_3) | instskip(NEXT) | instid1(VALU_DEP_3)
	v_cndmask_b32_e64 v8, v8, 0xffffff8a, vcc_lo
	v_lshl_add_u32 v16, 0x100000, v10, -1
	s_delay_alu instid0(VALU_DEP_3) | instskip(SKIP_1) | instid1(VALU_DEP_4)
	v_lshrrev_b32_e32 v17, v10, v9
	v_lshlrev_b32_e64 v19, v10, 0x80000
	v_add_nc_u32_e32 v10, v10, v8
	s_delay_alu instid0(VALU_DEP_4) | instskip(NEXT) | instid1(VALU_DEP_4)
	v_and_b32_e32 v9, v16, v9
	v_bfe_u32 v18, v17, 20, 1
	s_delay_alu instid0(VALU_DEP_2) | instskip(NEXT) | instid1(VALU_DEP_2)
	v_cmp_eq_u32_e64 s0, v9, v19
	v_add_nc_u32_e32 v16, -1, v18
	s_wait_alu 0xf1ff
	s_delay_alu instid0(VALU_DEP_1) | instskip(SKIP_2) | instid1(VALU_DEP_2)
	v_cndmask_b32_e64 v9, 0, v16, s0
	v_lshrrev_b32_e32 v16, 23, v17
	s_mov_b32 s0, exec_lo
	v_add_nc_u32_e32 v9, v9, v17
	s_delay_alu instid0(VALU_DEP_2) | instskip(NEXT) | instid1(VALU_DEP_2)
	v_xor_b32_e32 v16, 1, v16
	v_and_b32_e32 v8, 0xfffff, v9
	s_delay_alu instid0(VALU_DEP_1) | instskip(NEXT) | instid1(VALU_DEP_3)
	v_add_nc_u32_e32 v9, v8, v17
                                        ; implicit-def: $vgpr8
	v_cmpx_ne_u32_e64 v10, v16
	s_wait_alu 0xfffe
	s_xor_b32 s0, exec_lo, s0
; %bb.925:
	s_delay_alu instid0(VALU_DEP_2) | instskip(SKIP_3) | instid1(VALU_DEP_2)
	v_cmp_lt_u32_e32 vcc_lo, 0xffffff, v9
	v_sub_nc_u32_e32 v8, v10, v16
	s_wait_alu 0xfffd
	v_cndmask_b32_e64 v10, 0, 1, vcc_lo
	v_add_co_ci_u32_e64 v8, null, 0, v8, vcc_lo
	s_delay_alu instid0(VALU_DEP_2)
	v_lshrrev_b32_e32 v9, v10, v9
; %bb.926:
	s_wait_alu 0xfffe
	s_and_not1_saveexec_b32 s0, s0
; %bb.927:
	s_delay_alu instid0(VALU_DEP_1)
	v_bfe_u32 v8, v9, 23, 1
; %bb.928:
	s_wait_alu 0xfffe
	s_or_b32 exec_lo, exec_lo, s0
	v_lshrrev_b32_e32 v9, 20, v9
	s_delay_alu instid0(VALU_DEP_2) | instskip(SKIP_3) | instid1(VALU_DEP_2)
	v_cmp_gt_i32_e32 vcc_lo, 16, v8
	v_lshrrev_b32_e32 v10, 24, v11
	v_min_i32_e32 v11, 15, v8
	s_wait_alu 0xfffd
	v_dual_cndmask_b32 v9, 7, v9 :: v_dual_and_b32 v10, 0x80, v10
	s_delay_alu instid0(VALU_DEP_1) | instskip(SKIP_1) | instid1(VALU_DEP_2)
	v_or_b32_e32 v8, v8, v9
	v_and_b32_e32 v16, 7, v9
	v_cmp_ne_u32_e32 vcc_lo, 0, v8
	v_lshlrev_b32_e32 v11, 3, v11
	s_delay_alu instid0(VALU_DEP_1) | instskip(NEXT) | instid1(VALU_DEP_1)
	v_or3_b32 v10, v10, v11, v16
	v_lshlrev_b32_e32 v9, 24, v10
	s_wait_alu 0xfffd
	s_delay_alu instid0(VALU_DEP_1)
	v_cndmask_b32_e32 v16, 0, v9, vcc_lo
.LBB3_929:
	s_wait_alu 0xfffe
	s_or_b32 exec_lo, exec_lo, s6
.LBB3_930:
	s_delay_alu instid0(SALU_CYCLE_1)
	s_or_b32 exec_lo, exec_lo, s2
	ds_load_b128 v[8:11], v208 offset:16
	v_or_b32_e32 v13, v13, v12
	v_add_nc_u32_e32 v12, s4, v15
	v_wmma_f32_16x16x16_fp8_fp8 v[0:7], v[140:141], v[136:137], v[0:7]
	s_mov_b32 s0, s14
	s_mov_b32 s2, s5
	v_or3_b32 v14, v14, v13, v16
	v_mov_b32_e32 v13, 0x80
	buffer_store_b32 v14, v12, s[0:3], null offen
	s_mov_b32 s2, exec_lo
	s_wait_dscnt 0x0
	v_and_b32_e32 v17, 0x7f800000, v8
	s_delay_alu instid0(VALU_DEP_1)
	v_cmpx_ne_u32_e32 0x7f800000, v17
	s_cbranch_execz .LBB3_938
; %bb.931:
	v_mov_b32_e32 v13, 0
	s_mov_b32 s6, exec_lo
	v_cmpx_ne_u32_e32 0, v8
	s_cbranch_execz .LBB3_937
; %bb.932:
	v_bfe_u32 v13, v8, 23, 8
	s_delay_alu instid0(VALU_DEP_1) | instskip(SKIP_2) | instid1(VALU_DEP_2)
	v_sub_nc_u32_e32 v15, 0x78, v13
	v_cmp_gt_u32_e32 vcc_lo, 0x79, v13
	s_wait_alu 0xfffd
	v_dual_cndmask_b32 v15, 0, v15 :: v_dual_and_b32 v14, 0x7fffff, v8
	s_delay_alu instid0(VALU_DEP_1) | instskip(SKIP_2) | instid1(VALU_DEP_2)
	v_or_b32_e32 v16, 0x800000, v14
	v_cmp_eq_u32_e32 vcc_lo, 0, v13
	s_wait_alu 0xfffd
	v_dual_cndmask_b32 v14, v16, v14 :: v_dual_add_nc_u32 v13, 0xffffff89, v13
	v_cndmask_b32_e64 v15, v15, 0x77, vcc_lo
	s_delay_alu instid0(VALU_DEP_2) | instskip(NEXT) | instid1(VALU_DEP_2)
	v_cndmask_b32_e64 v13, v13, 0xffffff8a, vcc_lo
	v_lshrrev_b32_e32 v17, v15, v14
	v_lshl_add_u32 v16, 0x100000, v15, -1
	v_lshlrev_b32_e64 v19, v15, 0x80000
	s_delay_alu instid0(VALU_DEP_4) | instskip(NEXT) | instid1(VALU_DEP_4)
	v_add_nc_u32_e32 v15, v15, v13
	v_bfe_u32 v18, v17, 20, 1
	s_delay_alu instid0(VALU_DEP_4) | instskip(NEXT) | instid1(VALU_DEP_2)
	v_and_b32_e32 v14, v16, v14
	v_add_nc_u32_e32 v16, -1, v18
	s_delay_alu instid0(VALU_DEP_2) | instskip(SKIP_1) | instid1(VALU_DEP_1)
	v_cmp_eq_u32_e64 s0, v14, v19
	s_wait_alu 0xf1ff
	v_cndmask_b32_e64 v14, 0, v16, s0
	v_lshrrev_b32_e32 v16, 23, v17
	s_mov_b32 s0, exec_lo
	s_delay_alu instid0(VALU_DEP_2) | instskip(NEXT) | instid1(VALU_DEP_2)
	v_add_nc_u32_e32 v14, v14, v17
	v_xor_b32_e32 v16, 1, v16
	s_delay_alu instid0(VALU_DEP_2) | instskip(NEXT) | instid1(VALU_DEP_1)
	v_and_b32_e32 v13, 0xfffff, v14
	v_add_nc_u32_e32 v14, v13, v17
                                        ; implicit-def: $vgpr13
	s_delay_alu instid0(VALU_DEP_3)
	v_cmpx_ne_u32_e64 v15, v16
	s_wait_alu 0xfffe
	s_xor_b32 s0, exec_lo, s0
; %bb.933:
	s_delay_alu instid0(VALU_DEP_2) | instskip(SKIP_3) | instid1(VALU_DEP_2)
	v_cmp_lt_u32_e32 vcc_lo, 0xffffff, v14
	v_sub_nc_u32_e32 v13, v15, v16
	s_wait_alu 0xfffd
	v_cndmask_b32_e64 v15, 0, 1, vcc_lo
	v_add_co_ci_u32_e64 v13, null, 0, v13, vcc_lo
	s_delay_alu instid0(VALU_DEP_2)
	v_lshrrev_b32_e32 v14, v15, v14
; %bb.934:
	s_wait_alu 0xfffe
	s_and_not1_saveexec_b32 s0, s0
; %bb.935:
	s_delay_alu instid0(VALU_DEP_1)
	v_bfe_u32 v13, v14, 23, 1
; %bb.936:
	s_wait_alu 0xfffe
	s_or_b32 exec_lo, exec_lo, s0
	v_lshrrev_b32_e32 v14, 20, v14
	s_delay_alu instid0(VALU_DEP_2) | instskip(SKIP_3) | instid1(VALU_DEP_2)
	v_cmp_gt_i32_e32 vcc_lo, 16, v13
	v_min_i32_e32 v15, 15, v13
	v_lshrrev_b32_e32 v8, 24, v8
	s_wait_alu 0xfffd
	v_dual_cndmask_b32 v14, 7, v14 :: v_dual_lshlrev_b32 v15, 3, v15
	s_delay_alu instid0(VALU_DEP_2) | instskip(NEXT) | instid1(VALU_DEP_2)
	v_and_b32_e32 v8, 0x80, v8
	v_or_b32_e32 v13, v13, v14
	s_delay_alu instid0(VALU_DEP_3) | instskip(NEXT) | instid1(VALU_DEP_2)
	v_and_b32_e32 v15, 0xf8, v15
	v_cmp_ne_u32_e32 vcc_lo, 0, v13
	v_and_b32_e32 v16, 7, v14
	s_delay_alu instid0(VALU_DEP_1) | instskip(SKIP_1) | instid1(VALU_DEP_1)
	v_or3_b32 v8, v15, v8, v16
	s_wait_alu 0xfffd
	v_cndmask_b32_e32 v13, 0, v8, vcc_lo
.LBB3_937:
	s_wait_alu 0xfffe
	s_or_b32 exec_lo, exec_lo, s6
.LBB3_938:
	s_delay_alu instid0(SALU_CYCLE_1) | instskip(SKIP_2) | instid1(VALU_DEP_2)
	s_or_b32 exec_lo, exec_lo, s2
	v_and_b32_e32 v8, 0x7f800000, v9
	v_wmma_f32_16x16x16_fp8_fp8 v[0:7], v[142:143], v[138:139], v[0:7]
	v_cmp_ne_u32_e32 vcc_lo, 0x7f800000, v8
	v_mov_b32_e32 v8, 0x8000
	s_and_saveexec_b32 s2, vcc_lo
	s_cbranch_execz .LBB3_946
; %bb.939:
	v_mov_b32_e32 v8, 0
	s_mov_b32 s6, exec_lo
	v_cmpx_ne_u32_e32 0, v9
	s_cbranch_execz .LBB3_945
; %bb.940:
	v_bfe_u32 v8, v9, 23, 8
	s_delay_alu instid0(VALU_DEP_1) | instskip(SKIP_2) | instid1(VALU_DEP_2)
	v_sub_nc_u32_e32 v15, 0x78, v8
	v_cmp_gt_u32_e32 vcc_lo, 0x79, v8
	s_wait_alu 0xfffd
	v_dual_cndmask_b32 v15, 0, v15 :: v_dual_and_b32 v14, 0x7fffff, v9
	s_delay_alu instid0(VALU_DEP_1) | instskip(SKIP_4) | instid1(VALU_DEP_2)
	v_or_b32_e32 v16, 0x800000, v14
	v_cmp_eq_u32_e32 vcc_lo, 0, v8
	v_add_nc_u32_e32 v8, 0xffffff89, v8
	s_wait_alu 0xfffd
	v_cndmask_b32_e64 v15, v15, 0x77, vcc_lo
	v_cndmask_b32_e64 v8, v8, 0xffffff8a, vcc_lo
	v_cndmask_b32_e32 v14, v16, v14, vcc_lo
	s_delay_alu instid0(VALU_DEP_3) | instskip(SKIP_1) | instid1(VALU_DEP_3)
	v_lshl_add_u32 v16, 0x100000, v15, -1
	v_lshlrev_b32_e64 v19, v15, 0x80000
	v_lshrrev_b32_e32 v17, v15, v14
	v_add_nc_u32_e32 v15, v15, v8
	s_delay_alu instid0(VALU_DEP_4) | instskip(NEXT) | instid1(VALU_DEP_3)
	v_and_b32_e32 v14, v16, v14
	v_bfe_u32 v18, v17, 20, 1
	s_delay_alu instid0(VALU_DEP_2) | instskip(NEXT) | instid1(VALU_DEP_2)
	v_cmp_eq_u32_e64 s0, v14, v19
	v_add_nc_u32_e32 v16, -1, v18
	s_wait_alu 0xf1ff
	s_delay_alu instid0(VALU_DEP_1) | instskip(SKIP_2) | instid1(VALU_DEP_2)
	v_cndmask_b32_e64 v14, 0, v16, s0
	v_lshrrev_b32_e32 v16, 23, v17
	s_mov_b32 s0, exec_lo
	v_add_nc_u32_e32 v14, v14, v17
	s_delay_alu instid0(VALU_DEP_2) | instskip(NEXT) | instid1(VALU_DEP_2)
	v_xor_b32_e32 v16, 1, v16
	v_and_b32_e32 v8, 0xfffff, v14
	s_delay_alu instid0(VALU_DEP_1) | instskip(NEXT) | instid1(VALU_DEP_3)
	v_add_nc_u32_e32 v14, v8, v17
                                        ; implicit-def: $vgpr8
	v_cmpx_ne_u32_e64 v15, v16
	s_wait_alu 0xfffe
	s_xor_b32 s0, exec_lo, s0
; %bb.941:
	s_delay_alu instid0(VALU_DEP_2) | instskip(SKIP_3) | instid1(VALU_DEP_2)
	v_cmp_lt_u32_e32 vcc_lo, 0xffffff, v14
	v_sub_nc_u32_e32 v8, v15, v16
	s_wait_alu 0xfffd
	v_cndmask_b32_e64 v15, 0, 1, vcc_lo
	v_add_co_ci_u32_e64 v8, null, 0, v8, vcc_lo
	s_delay_alu instid0(VALU_DEP_2)
	v_lshrrev_b32_e32 v14, v15, v14
; %bb.942:
	s_wait_alu 0xfffe
	s_and_not1_saveexec_b32 s0, s0
; %bb.943:
	s_delay_alu instid0(VALU_DEP_1)
	v_bfe_u32 v8, v14, 23, 1
; %bb.944:
	s_wait_alu 0xfffe
	s_or_b32 exec_lo, exec_lo, s0
	v_lshrrev_b32_e32 v14, 20, v14
	s_delay_alu instid0(VALU_DEP_2) | instskip(SKIP_3) | instid1(VALU_DEP_2)
	v_cmp_gt_i32_e32 vcc_lo, 16, v8
	v_min_i32_e32 v15, 15, v8
	v_lshrrev_b32_e32 v9, 24, v9
	s_wait_alu 0xfffd
	v_dual_cndmask_b32 v14, 7, v14 :: v_dual_lshlrev_b32 v15, 3, v15
	s_delay_alu instid0(VALU_DEP_2) | instskip(NEXT) | instid1(VALU_DEP_2)
	v_and_b32_e32 v9, 0x80, v9
	v_or_b32_e32 v8, v8, v14
	v_and_b32_e32 v16, 7, v14
	s_delay_alu instid0(VALU_DEP_2) | instskip(SKIP_1) | instid1(VALU_DEP_1)
	v_cmp_ne_u32_e32 vcc_lo, 0, v8
	v_and_b32_e32 v15, 0xf8, v15
	v_or3_b32 v9, v9, v15, v16
	s_delay_alu instid0(VALU_DEP_1) | instskip(SKIP_1) | instid1(VALU_DEP_1)
	v_lshlrev_b32_e32 v9, 8, v9
	s_wait_alu 0xfffd
	v_cndmask_b32_e32 v8, 0, v9, vcc_lo
.LBB3_945:
	s_wait_alu 0xfffe
	s_or_b32 exec_lo, exec_lo, s6
.LBB3_946:
	s_delay_alu instid0(SALU_CYCLE_1) | instskip(SKIP_2) | instid1(VALU_DEP_2)
	s_or_b32 exec_lo, exec_lo, s2
	v_and_b32_e32 v9, 0x7f800000, v10
	v_wmma_f32_16x16x16_fp8_fp8 v[0:7], v[132:133], v[128:129], v[0:7]
	v_cmp_ne_u32_e32 vcc_lo, 0x7f800000, v9
	v_mov_b32_e32 v9, 0x800000
	s_and_saveexec_b32 s2, vcc_lo
	s_cbranch_execz .LBB3_954
; %bb.947:
	v_mov_b32_e32 v9, 0
	s_mov_b32 s6, exec_lo
	v_cmpx_ne_u32_e32 0, v10
	s_cbranch_execz .LBB3_953
; %bb.948:
	v_bfe_u32 v9, v10, 23, 8
	s_delay_alu instid0(VALU_DEP_1) | instskip(SKIP_2) | instid1(VALU_DEP_2)
	v_sub_nc_u32_e32 v15, 0x78, v9
	v_cmp_gt_u32_e32 vcc_lo, 0x79, v9
	s_wait_alu 0xfffd
	v_dual_cndmask_b32 v15, 0, v15 :: v_dual_and_b32 v14, 0x7fffff, v10
	s_delay_alu instid0(VALU_DEP_1) | instskip(SKIP_2) | instid1(VALU_DEP_2)
	v_or_b32_e32 v16, 0x800000, v14
	v_cmp_eq_u32_e32 vcc_lo, 0, v9
	s_wait_alu 0xfffd
	v_dual_cndmask_b32 v14, v16, v14 :: v_dual_add_nc_u32 v9, 0xffffff89, v9
	v_cndmask_b32_e64 v15, v15, 0x77, vcc_lo
	s_delay_alu instid0(VALU_DEP_2) | instskip(NEXT) | instid1(VALU_DEP_2)
	v_cndmask_b32_e64 v9, v9, 0xffffff8a, vcc_lo
	v_lshrrev_b32_e32 v17, v15, v14
	v_lshl_add_u32 v16, 0x100000, v15, -1
	v_lshlrev_b32_e64 v19, v15, 0x80000
	s_delay_alu instid0(VALU_DEP_4) | instskip(NEXT) | instid1(VALU_DEP_4)
	v_add_nc_u32_e32 v15, v15, v9
	v_bfe_u32 v18, v17, 20, 1
	s_delay_alu instid0(VALU_DEP_4) | instskip(NEXT) | instid1(VALU_DEP_2)
	v_and_b32_e32 v14, v16, v14
	v_add_nc_u32_e32 v16, -1, v18
	s_delay_alu instid0(VALU_DEP_2) | instskip(SKIP_1) | instid1(VALU_DEP_1)
	v_cmp_eq_u32_e64 s0, v14, v19
	s_wait_alu 0xf1ff
	v_cndmask_b32_e64 v14, 0, v16, s0
	v_lshrrev_b32_e32 v16, 23, v17
	s_mov_b32 s0, exec_lo
	s_delay_alu instid0(VALU_DEP_2) | instskip(NEXT) | instid1(VALU_DEP_2)
	v_add_nc_u32_e32 v14, v14, v17
	v_xor_b32_e32 v16, 1, v16
	s_delay_alu instid0(VALU_DEP_2) | instskip(NEXT) | instid1(VALU_DEP_1)
	v_and_b32_e32 v9, 0xfffff, v14
	v_add_nc_u32_e32 v14, v9, v17
                                        ; implicit-def: $vgpr9
	s_delay_alu instid0(VALU_DEP_3)
	v_cmpx_ne_u32_e64 v15, v16
	s_wait_alu 0xfffe
	s_xor_b32 s0, exec_lo, s0
; %bb.949:
	s_delay_alu instid0(VALU_DEP_2) | instskip(SKIP_3) | instid1(VALU_DEP_2)
	v_cmp_lt_u32_e32 vcc_lo, 0xffffff, v14
	v_sub_nc_u32_e32 v9, v15, v16
	s_wait_alu 0xfffd
	v_cndmask_b32_e64 v15, 0, 1, vcc_lo
	v_add_co_ci_u32_e64 v9, null, 0, v9, vcc_lo
	s_delay_alu instid0(VALU_DEP_2)
	v_lshrrev_b32_e32 v14, v15, v14
; %bb.950:
	s_wait_alu 0xfffe
	s_and_not1_saveexec_b32 s0, s0
; %bb.951:
	s_delay_alu instid0(VALU_DEP_1)
	v_bfe_u32 v9, v14, 23, 1
; %bb.952:
	s_wait_alu 0xfffe
	s_or_b32 exec_lo, exec_lo, s0
	v_lshrrev_b32_e32 v14, 20, v14
	s_delay_alu instid0(VALU_DEP_2) | instskip(SKIP_3) | instid1(VALU_DEP_3)
	v_min_i32_e32 v15, 15, v9
	v_cmp_gt_i32_e32 vcc_lo, 16, v9
	v_lshrrev_b32_e32 v10, 24, v10
	s_wait_alu 0xfffd
	v_dual_cndmask_b32 v14, 7, v14 :: v_dual_lshlrev_b32 v15, 3, v15
	s_delay_alu instid0(VALU_DEP_2) | instskip(NEXT) | instid1(VALU_DEP_2)
	v_and_b32_e32 v10, 0x80, v10
	v_and_b32_e32 v15, 0xf8, v15
	s_delay_alu instid0(VALU_DEP_3) | instskip(SKIP_1) | instid1(VALU_DEP_2)
	v_and_b32_e32 v16, 7, v14
	v_or_b32_e32 v9, v9, v14
	v_or3_b32 v10, v10, v15, v16
	s_delay_alu instid0(VALU_DEP_2) | instskip(NEXT) | instid1(VALU_DEP_2)
	v_cmp_ne_u32_e32 vcc_lo, 0, v9
	v_lshlrev_b32_e32 v10, 16, v10
	s_wait_alu 0xfffd
	s_delay_alu instid0(VALU_DEP_1)
	v_cndmask_b32_e32 v9, 0, v10, vcc_lo
.LBB3_953:
	s_wait_alu 0xfffe
	s_or_b32 exec_lo, exec_lo, s6
.LBB3_954:
	s_delay_alu instid0(SALU_CYCLE_1) | instskip(SKIP_2) | instid1(VALU_DEP_2)
	s_or_b32 exec_lo, exec_lo, s2
	v_and_b32_e32 v10, 0x7f800000, v11
	v_wmma_f32_16x16x16_fp8_fp8 v[0:7], v[134:135], v[130:131], v[0:7]
	v_cmp_ne_u32_e32 vcc_lo, 0x7f800000, v10
	v_bfrev_b32_e32 v10, 1
	s_and_saveexec_b32 s2, vcc_lo
	s_cbranch_execz .LBB3_962
; %bb.955:
	v_mov_b32_e32 v10, 0
	s_mov_b32 s6, exec_lo
	v_cmpx_ne_u32_e32 0, v11
	s_cbranch_execz .LBB3_961
; %bb.956:
	v_bfe_u32 v10, v11, 23, 8
	v_and_b32_e32 v14, 0x7fffff, v11
	s_delay_alu instid0(VALU_DEP_2) | instskip(SKIP_1) | instid1(VALU_DEP_3)
	v_sub_nc_u32_e32 v15, 0x78, v10
	v_cmp_gt_u32_e32 vcc_lo, 0x79, v10
	v_or_b32_e32 v16, 0x800000, v14
	s_wait_alu 0xfffd
	s_delay_alu instid0(VALU_DEP_3)
	v_cndmask_b32_e32 v15, 0, v15, vcc_lo
	v_cmp_eq_u32_e32 vcc_lo, 0, v10
	v_add_nc_u32_e32 v10, 0xffffff89, v10
	s_wait_alu 0xfffd
	v_cndmask_b32_e32 v14, v16, v14, vcc_lo
	v_cndmask_b32_e64 v15, v15, 0x77, vcc_lo
	s_delay_alu instid0(VALU_DEP_3) | instskip(NEXT) | instid1(VALU_DEP_2)
	v_cndmask_b32_e64 v10, v10, 0xffffff8a, vcc_lo
	v_lshrrev_b32_e32 v17, v15, v14
	v_lshl_add_u32 v16, 0x100000, v15, -1
	v_lshlrev_b32_e64 v19, v15, 0x80000
	s_delay_alu instid0(VALU_DEP_4) | instskip(NEXT) | instid1(VALU_DEP_4)
	v_add_nc_u32_e32 v15, v15, v10
	v_bfe_u32 v18, v17, 20, 1
	s_delay_alu instid0(VALU_DEP_4) | instskip(NEXT) | instid1(VALU_DEP_2)
	v_and_b32_e32 v14, v16, v14
	v_add_nc_u32_e32 v16, -1, v18
	s_delay_alu instid0(VALU_DEP_2) | instskip(SKIP_1) | instid1(VALU_DEP_1)
	v_cmp_eq_u32_e64 s0, v14, v19
	s_wait_alu 0xf1ff
	v_cndmask_b32_e64 v14, 0, v16, s0
	v_lshrrev_b32_e32 v16, 23, v17
	s_mov_b32 s0, exec_lo
	s_delay_alu instid0(VALU_DEP_2) | instskip(NEXT) | instid1(VALU_DEP_2)
	v_add_nc_u32_e32 v14, v14, v17
	v_xor_b32_e32 v16, 1, v16
	s_delay_alu instid0(VALU_DEP_2) | instskip(NEXT) | instid1(VALU_DEP_1)
	v_and_b32_e32 v10, 0xfffff, v14
	v_add_nc_u32_e32 v14, v10, v17
                                        ; implicit-def: $vgpr10
	s_delay_alu instid0(VALU_DEP_3)
	v_cmpx_ne_u32_e64 v15, v16
	s_wait_alu 0xfffe
	s_xor_b32 s0, exec_lo, s0
; %bb.957:
	s_delay_alu instid0(VALU_DEP_2) | instskip(SKIP_3) | instid1(VALU_DEP_2)
	v_cmp_lt_u32_e32 vcc_lo, 0xffffff, v14
	v_sub_nc_u32_e32 v10, v15, v16
	s_wait_alu 0xfffd
	v_cndmask_b32_e64 v15, 0, 1, vcc_lo
	v_add_co_ci_u32_e64 v10, null, 0, v10, vcc_lo
	s_delay_alu instid0(VALU_DEP_2)
	v_lshrrev_b32_e32 v14, v15, v14
; %bb.958:
	s_wait_alu 0xfffe
	s_and_not1_saveexec_b32 s0, s0
; %bb.959:
	s_delay_alu instid0(VALU_DEP_1)
	v_bfe_u32 v10, v14, 23, 1
; %bb.960:
	s_wait_alu 0xfffe
	s_or_b32 exec_lo, exec_lo, s0
	v_lshrrev_b32_e32 v14, 20, v14
	s_delay_alu instid0(VALU_DEP_2) | instskip(SKIP_3) | instid1(VALU_DEP_2)
	v_cmp_gt_i32_e32 vcc_lo, 16, v10
	v_lshrrev_b32_e32 v11, 24, v11
	v_min_i32_e32 v15, 15, v10
	s_wait_alu 0xfffd
	v_dual_cndmask_b32 v14, 7, v14 :: v_dual_and_b32 v11, 0x80, v11
	s_delay_alu instid0(VALU_DEP_2) | instskip(NEXT) | instid1(VALU_DEP_2)
	v_lshlrev_b32_e32 v15, 3, v15
	v_and_b32_e32 v16, 7, v14
	v_or_b32_e32 v10, v10, v14
	s_delay_alu instid0(VALU_DEP_2) | instskip(NEXT) | instid1(VALU_DEP_2)
	v_or3_b32 v11, v11, v15, v16
	v_cmp_ne_u32_e32 vcc_lo, 0, v10
	s_delay_alu instid0(VALU_DEP_2) | instskip(SKIP_1) | instid1(VALU_DEP_1)
	v_lshlrev_b32_e32 v11, 24, v11
	s_wait_alu 0xfffd
	v_cndmask_b32_e32 v10, 0, v11, vcc_lo
.LBB3_961:
	s_wait_alu 0xfffe
	s_or_b32 exec_lo, exec_lo, s6
.LBB3_962:
	s_delay_alu instid0(SALU_CYCLE_1) | instskip(SKIP_3) | instid1(VALU_DEP_1)
	s_or_b32 exec_lo, exec_lo, s2
	v_or_b32_e32 v8, v8, v13
	s_mov_b32 s0, s14
	s_mov_b32 s2, s5
	v_or3_b32 v8, v9, v8, v10
	buffer_store_b32 v8, v12, s[0:3], null offen offset:4
	s_wait_dscnt 0x0
	s_barrier_signal -1
	s_barrier_wait -1
	ds_store_2addr_stride64_b32 v209, v0, v1 offset1:1
	ds_store_2addr_stride64_b32 v209, v2, v3 offset0:2 offset1:3
	ds_store_2addr_stride64_b32 v209, v4, v5 offset0:4 offset1:5
	;; [unrolled: 1-line block ×3, first 2 shown]
	s_wait_dscnt 0x0
	s_barrier_signal -1
	s_barrier_wait -1
	ds_load_b128 v[0:3], v208
	s_wait_dscnt 0x0
	v_and_b32_e32 v4, 0x7f800000, v0
	s_delay_alu instid0(VALU_DEP_1)
	v_cmp_ne_u32_e32 vcc_lo, 0x7f800000, v4
	v_mov_b32_e32 v4, 0x80
	s_and_saveexec_b32 s2, vcc_lo
	s_cbranch_execz .LBB3_970
; %bb.963:
	v_mov_b32_e32 v4, 0
	s_mov_b32 s6, exec_lo
	v_cmpx_ne_u32_e32 0, v0
	s_cbranch_execz .LBB3_969
; %bb.964:
	v_bfe_u32 v4, v0, 23, 8
	s_delay_alu instid0(VALU_DEP_1) | instskip(SKIP_2) | instid1(VALU_DEP_2)
	v_sub_nc_u32_e32 v6, 0x78, v4
	v_cmp_gt_u32_e32 vcc_lo, 0x79, v4
	s_wait_alu 0xfffd
	v_dual_cndmask_b32 v6, 0, v6 :: v_dual_and_b32 v5, 0x7fffff, v0
	s_delay_alu instid0(VALU_DEP_1) | instskip(SKIP_2) | instid1(VALU_DEP_2)
	v_or_b32_e32 v7, 0x800000, v5
	v_cmp_eq_u32_e32 vcc_lo, 0, v4
	s_wait_alu 0xfffd
	v_dual_cndmask_b32 v5, v7, v5 :: v_dual_add_nc_u32 v4, 0xffffff89, v4
	v_cndmask_b32_e64 v6, v6, 0x77, vcc_lo
	s_delay_alu instid0(VALU_DEP_2) | instskip(NEXT) | instid1(VALU_DEP_2)
	v_cndmask_b32_e64 v4, v4, 0xffffff8a, vcc_lo
	v_lshrrev_b32_e32 v8, v6, v5
	v_lshl_add_u32 v7, 0x100000, v6, -1
	v_lshlrev_b32_e64 v10, v6, 0x80000
	s_delay_alu instid0(VALU_DEP_4) | instskip(NEXT) | instid1(VALU_DEP_4)
	v_add_nc_u32_e32 v6, v6, v4
	v_bfe_u32 v9, v8, 20, 1
	s_delay_alu instid0(VALU_DEP_4) | instskip(NEXT) | instid1(VALU_DEP_2)
	v_and_b32_e32 v5, v7, v5
	v_add_nc_u32_e32 v7, -1, v9
	s_delay_alu instid0(VALU_DEP_2) | instskip(SKIP_1) | instid1(VALU_DEP_1)
	v_cmp_eq_u32_e64 s0, v5, v10
	s_wait_alu 0xf1ff
	v_cndmask_b32_e64 v5, 0, v7, s0
	v_lshrrev_b32_e32 v7, 23, v8
	s_mov_b32 s0, exec_lo
	s_delay_alu instid0(VALU_DEP_2) | instskip(NEXT) | instid1(VALU_DEP_2)
	v_add_nc_u32_e32 v5, v5, v8
	v_xor_b32_e32 v7, 1, v7
	s_delay_alu instid0(VALU_DEP_2) | instskip(NEXT) | instid1(VALU_DEP_1)
	v_and_b32_e32 v4, 0xfffff, v5
	v_add_nc_u32_e32 v5, v4, v8
                                        ; implicit-def: $vgpr4
	s_delay_alu instid0(VALU_DEP_3)
	v_cmpx_ne_u32_e64 v6, v7
	s_wait_alu 0xfffe
	s_xor_b32 s0, exec_lo, s0
; %bb.965:
	s_delay_alu instid0(VALU_DEP_2) | instskip(SKIP_3) | instid1(VALU_DEP_2)
	v_cmp_lt_u32_e32 vcc_lo, 0xffffff, v5
	v_sub_nc_u32_e32 v4, v6, v7
	s_wait_alu 0xfffd
	v_cndmask_b32_e64 v6, 0, 1, vcc_lo
	v_add_co_ci_u32_e64 v4, null, 0, v4, vcc_lo
	s_delay_alu instid0(VALU_DEP_2)
	v_lshrrev_b32_e32 v5, v6, v5
; %bb.966:
	s_wait_alu 0xfffe
	s_and_not1_saveexec_b32 s0, s0
; %bb.967:
	s_delay_alu instid0(VALU_DEP_1)
	v_bfe_u32 v4, v5, 23, 1
; %bb.968:
	s_wait_alu 0xfffe
	s_or_b32 exec_lo, exec_lo, s0
	v_lshrrev_b32_e32 v5, 20, v5
	s_delay_alu instid0(VALU_DEP_2) | instskip(SKIP_3) | instid1(VALU_DEP_2)
	v_cmp_gt_i32_e32 vcc_lo, 16, v4
	v_min_i32_e32 v6, 15, v4
	v_lshrrev_b32_e32 v0, 24, v0
	s_wait_alu 0xfffd
	v_dual_cndmask_b32 v5, 7, v5 :: v_dual_lshlrev_b32 v6, 3, v6
	s_delay_alu instid0(VALU_DEP_2) | instskip(NEXT) | instid1(VALU_DEP_2)
	v_and_b32_e32 v0, 0x80, v0
	v_or_b32_e32 v4, v4, v5
	s_delay_alu instid0(VALU_DEP_3) | instskip(NEXT) | instid1(VALU_DEP_2)
	v_and_b32_e32 v6, 0xf8, v6
	v_cmp_ne_u32_e32 vcc_lo, 0, v4
	v_and_b32_e32 v7, 7, v5
	s_delay_alu instid0(VALU_DEP_1) | instskip(SKIP_1) | instid1(VALU_DEP_1)
	v_or3_b32 v0, v6, v0, v7
	s_wait_alu 0xfffd
	v_cndmask_b32_e32 v4, 0, v0, vcc_lo
.LBB3_969:
	s_wait_alu 0xfffe
	s_or_b32 exec_lo, exec_lo, s6
.LBB3_970:
	s_delay_alu instid0(SALU_CYCLE_1) | instskip(SKIP_3) | instid1(VALU_DEP_2)
	s_or_b32 exec_lo, exec_lo, s2
	v_and_b32_e32 v0, 0x7f800000, v1
	v_mov_b32_e32 v5, 0x8000
	s_mov_b32 s2, exec_lo
	v_cmpx_ne_u32_e32 0x7f800000, v0
	s_cbranch_execz .LBB3_978
; %bb.971:
	v_mov_b32_e32 v5, 0
	s_mov_b32 s6, exec_lo
	v_cmpx_ne_u32_e32 0, v1
	s_cbranch_execz .LBB3_977
; %bb.972:
	v_bfe_u32 v0, v1, 23, 8
	s_delay_alu instid0(VALU_DEP_1) | instskip(SKIP_2) | instid1(VALU_DEP_2)
	v_sub_nc_u32_e32 v6, 0x78, v0
	v_cmp_gt_u32_e32 vcc_lo, 0x79, v0
	s_wait_alu 0xfffd
	v_dual_cndmask_b32 v6, 0, v6 :: v_dual_and_b32 v5, 0x7fffff, v1
	s_delay_alu instid0(VALU_DEP_1) | instskip(SKIP_2) | instid1(VALU_DEP_2)
	v_or_b32_e32 v7, 0x800000, v5
	v_cmp_eq_u32_e32 vcc_lo, 0, v0
	s_wait_alu 0xfffd
	v_dual_cndmask_b32 v5, v7, v5 :: v_dual_add_nc_u32 v0, 0xffffff89, v0
	v_cndmask_b32_e64 v6, v6, 0x77, vcc_lo
	s_delay_alu instid0(VALU_DEP_2) | instskip(NEXT) | instid1(VALU_DEP_2)
	v_cndmask_b32_e64 v0, v0, 0xffffff8a, vcc_lo
	v_lshrrev_b32_e32 v8, v6, v5
	v_lshl_add_u32 v7, 0x100000, v6, -1
	v_lshlrev_b32_e64 v10, v6, 0x80000
	s_delay_alu instid0(VALU_DEP_4) | instskip(NEXT) | instid1(VALU_DEP_4)
	v_add_nc_u32_e32 v6, v6, v0
	v_bfe_u32 v9, v8, 20, 1
	s_delay_alu instid0(VALU_DEP_4) | instskip(NEXT) | instid1(VALU_DEP_2)
	v_and_b32_e32 v5, v7, v5
	v_add_nc_u32_e32 v7, -1, v9
	s_delay_alu instid0(VALU_DEP_2) | instskip(SKIP_1) | instid1(VALU_DEP_1)
	v_cmp_eq_u32_e64 s0, v5, v10
	s_wait_alu 0xf1ff
	v_cndmask_b32_e64 v5, 0, v7, s0
	v_lshrrev_b32_e32 v7, 23, v8
	s_mov_b32 s0, exec_lo
	s_delay_alu instid0(VALU_DEP_2) | instskip(NEXT) | instid1(VALU_DEP_2)
	v_add_nc_u32_e32 v5, v5, v8
	v_xor_b32_e32 v7, 1, v7
	s_delay_alu instid0(VALU_DEP_2) | instskip(NEXT) | instid1(VALU_DEP_1)
	v_and_b32_e32 v0, 0xfffff, v5
	v_add_nc_u32_e32 v5, v0, v8
                                        ; implicit-def: $vgpr0
	s_delay_alu instid0(VALU_DEP_3)
	v_cmpx_ne_u32_e64 v6, v7
	s_wait_alu 0xfffe
	s_xor_b32 s0, exec_lo, s0
; %bb.973:
	s_delay_alu instid0(VALU_DEP_2) | instskip(SKIP_3) | instid1(VALU_DEP_2)
	v_cmp_lt_u32_e32 vcc_lo, 0xffffff, v5
	v_sub_nc_u32_e32 v0, v6, v7
	s_wait_alu 0xfffd
	v_cndmask_b32_e64 v6, 0, 1, vcc_lo
	v_add_co_ci_u32_e64 v0, null, 0, v0, vcc_lo
	s_delay_alu instid0(VALU_DEP_2)
	v_lshrrev_b32_e32 v5, v6, v5
; %bb.974:
	s_wait_alu 0xfffe
	s_and_not1_saveexec_b32 s0, s0
; %bb.975:
	s_delay_alu instid0(VALU_DEP_1)
	v_bfe_u32 v0, v5, 23, 1
; %bb.976:
	s_wait_alu 0xfffe
	s_or_b32 exec_lo, exec_lo, s0
	v_lshrrev_b32_e32 v5, 20, v5
	s_delay_alu instid0(VALU_DEP_2) | instskip(SKIP_3) | instid1(VALU_DEP_2)
	v_cmp_gt_i32_e32 vcc_lo, 16, v0
	v_min_i32_e32 v6, 15, v0
	v_lshrrev_b32_e32 v1, 24, v1
	s_wait_alu 0xfffd
	v_dual_cndmask_b32 v5, 7, v5 :: v_dual_lshlrev_b32 v6, 3, v6
	s_delay_alu instid0(VALU_DEP_2) | instskip(NEXT) | instid1(VALU_DEP_2)
	v_and_b32_e32 v1, 0x80, v1
	v_or_b32_e32 v0, v0, v5
	v_and_b32_e32 v7, 7, v5
	s_delay_alu instid0(VALU_DEP_2) | instskip(SKIP_1) | instid1(VALU_DEP_1)
	v_cmp_ne_u32_e32 vcc_lo, 0, v0
	v_and_b32_e32 v6, 0xf8, v6
	v_or3_b32 v1, v1, v6, v7
	s_delay_alu instid0(VALU_DEP_1) | instskip(SKIP_1) | instid1(VALU_DEP_1)
	v_lshlrev_b32_e32 v1, 8, v1
	s_wait_alu 0xfffd
	v_cndmask_b32_e32 v5, 0, v1, vcc_lo
.LBB3_977:
	s_wait_alu 0xfffe
	s_or_b32 exec_lo, exec_lo, s6
.LBB3_978:
	s_delay_alu instid0(SALU_CYCLE_1) | instskip(SKIP_3) | instid1(VALU_DEP_2)
	s_or_b32 exec_lo, exec_lo, s2
	v_and_b32_e32 v0, 0x7f800000, v2
	v_mov_b32_e32 v6, 0x800000
	s_mov_b32 s2, exec_lo
	v_cmpx_ne_u32_e32 0x7f800000, v0
	s_cbranch_execz .LBB3_986
; %bb.979:
	v_mov_b32_e32 v6, 0
	s_mov_b32 s6, exec_lo
	v_cmpx_ne_u32_e32 0, v2
	s_cbranch_execz .LBB3_985
; %bb.980:
	v_bfe_u32 v0, v2, 23, 8
	v_and_b32_e32 v1, 0x7fffff, v2
	s_delay_alu instid0(VALU_DEP_2) | instskip(SKIP_1) | instid1(VALU_DEP_3)
	v_sub_nc_u32_e32 v6, 0x78, v0
	v_cmp_gt_u32_e32 vcc_lo, 0x79, v0
	v_or_b32_e32 v7, 0x800000, v1
	s_wait_alu 0xfffd
	s_delay_alu instid0(VALU_DEP_3) | instskip(SKIP_3) | instid1(VALU_DEP_3)
	v_cndmask_b32_e32 v6, 0, v6, vcc_lo
	v_cmp_eq_u32_e32 vcc_lo, 0, v0
	s_wait_alu 0xfffd
	v_dual_cndmask_b32 v1, v7, v1 :: v_dual_add_nc_u32 v0, 0xffffff89, v0
	v_cndmask_b32_e64 v6, v6, 0x77, vcc_lo
	s_delay_alu instid0(VALU_DEP_2) | instskip(NEXT) | instid1(VALU_DEP_2)
	v_cndmask_b32_e64 v0, v0, 0xffffff8a, vcc_lo
	v_lshrrev_b32_e32 v8, v6, v1
	v_lshl_add_u32 v7, 0x100000, v6, -1
	v_lshlrev_b32_e64 v10, v6, 0x80000
	s_delay_alu instid0(VALU_DEP_4) | instskip(NEXT) | instid1(VALU_DEP_4)
	v_add_nc_u32_e32 v6, v6, v0
	v_bfe_u32 v9, v8, 20, 1
	s_delay_alu instid0(VALU_DEP_4) | instskip(NEXT) | instid1(VALU_DEP_2)
	v_and_b32_e32 v1, v7, v1
	v_add_nc_u32_e32 v7, -1, v9
	s_delay_alu instid0(VALU_DEP_2) | instskip(SKIP_1) | instid1(VALU_DEP_1)
	v_cmp_eq_u32_e64 s0, v1, v10
	s_wait_alu 0xf1ff
	v_cndmask_b32_e64 v1, 0, v7, s0
	v_lshrrev_b32_e32 v7, 23, v8
	s_mov_b32 s0, exec_lo
	s_delay_alu instid0(VALU_DEP_2) | instskip(NEXT) | instid1(VALU_DEP_2)
	v_add_nc_u32_e32 v1, v1, v8
	v_xor_b32_e32 v7, 1, v7
	s_delay_alu instid0(VALU_DEP_2) | instskip(NEXT) | instid1(VALU_DEP_1)
	v_and_b32_e32 v0, 0xfffff, v1
	v_add_nc_u32_e32 v1, v0, v8
                                        ; implicit-def: $vgpr0
	s_delay_alu instid0(VALU_DEP_3)
	v_cmpx_ne_u32_e64 v6, v7
	s_wait_alu 0xfffe
	s_xor_b32 s0, exec_lo, s0
; %bb.981:
	s_delay_alu instid0(VALU_DEP_2) | instskip(SKIP_3) | instid1(VALU_DEP_2)
	v_cmp_lt_u32_e32 vcc_lo, 0xffffff, v1
	v_sub_nc_u32_e32 v0, v6, v7
	s_wait_alu 0xfffd
	v_cndmask_b32_e64 v6, 0, 1, vcc_lo
	v_add_co_ci_u32_e64 v0, null, 0, v0, vcc_lo
	s_delay_alu instid0(VALU_DEP_2)
	v_lshrrev_b32_e32 v1, v6, v1
; %bb.982:
	s_wait_alu 0xfffe
	s_and_not1_saveexec_b32 s0, s0
; %bb.983:
	s_delay_alu instid0(VALU_DEP_1)
	v_bfe_u32 v0, v1, 23, 1
; %bb.984:
	s_wait_alu 0xfffe
	s_or_b32 exec_lo, exec_lo, s0
	v_lshrrev_b32_e32 v1, 20, v1
	s_delay_alu instid0(VALU_DEP_2) | instskip(SKIP_3) | instid1(VALU_DEP_3)
	v_min_i32_e32 v6, 15, v0
	v_cmp_gt_i32_e32 vcc_lo, 16, v0
	v_lshrrev_b32_e32 v2, 24, v2
	s_wait_alu 0xfffd
	v_dual_cndmask_b32 v1, 7, v1 :: v_dual_lshlrev_b32 v6, 3, v6
	s_delay_alu instid0(VALU_DEP_2) | instskip(NEXT) | instid1(VALU_DEP_2)
	v_and_b32_e32 v2, 0x80, v2
	v_and_b32_e32 v6, 0xf8, v6
	s_delay_alu instid0(VALU_DEP_3) | instskip(SKIP_1) | instid1(VALU_DEP_2)
	v_and_b32_e32 v7, 7, v1
	v_or_b32_e32 v0, v0, v1
	v_or3_b32 v2, v2, v6, v7
	s_delay_alu instid0(VALU_DEP_2) | instskip(NEXT) | instid1(VALU_DEP_2)
	v_cmp_ne_u32_e32 vcc_lo, 0, v0
	v_lshlrev_b32_e32 v1, 16, v2
	s_wait_alu 0xfffd
	s_delay_alu instid0(VALU_DEP_1)
	v_cndmask_b32_e32 v6, 0, v1, vcc_lo
.LBB3_985:
	s_wait_alu 0xfffe
	s_or_b32 exec_lo, exec_lo, s6
.LBB3_986:
	s_delay_alu instid0(SALU_CYCLE_1) | instskip(SKIP_3) | instid1(VALU_DEP_2)
	s_or_b32 exec_lo, exec_lo, s2
	v_and_b32_e32 v0, 0x7f800000, v3
	v_bfrev_b32_e32 v7, 1
	s_mov_b32 s2, exec_lo
	v_cmpx_ne_u32_e32 0x7f800000, v0
	s_cbranch_execz .LBB3_994
; %bb.987:
	v_mov_b32_e32 v7, 0
	s_mov_b32 s6, exec_lo
	v_cmpx_ne_u32_e32 0, v3
	s_cbranch_execz .LBB3_993
; %bb.988:
	v_bfe_u32 v0, v3, 23, 8
	s_delay_alu instid0(VALU_DEP_1) | instskip(SKIP_2) | instid1(VALU_DEP_2)
	v_sub_nc_u32_e32 v2, 0x78, v0
	v_cmp_gt_u32_e32 vcc_lo, 0x79, v0
	s_wait_alu 0xfffd
	v_dual_cndmask_b32 v2, 0, v2 :: v_dual_and_b32 v1, 0x7fffff, v3
	s_delay_alu instid0(VALU_DEP_1) | instskip(SKIP_2) | instid1(VALU_DEP_2)
	v_or_b32_e32 v7, 0x800000, v1
	v_cmp_eq_u32_e32 vcc_lo, 0, v0
	s_wait_alu 0xfffd
	v_dual_cndmask_b32 v1, v7, v1 :: v_dual_add_nc_u32 v0, 0xffffff89, v0
	v_cndmask_b32_e64 v2, v2, 0x77, vcc_lo
	s_delay_alu instid0(VALU_DEP_2) | instskip(NEXT) | instid1(VALU_DEP_2)
	v_cndmask_b32_e64 v0, v0, 0xffffff8a, vcc_lo
	v_lshrrev_b32_e32 v8, v2, v1
	v_lshl_add_u32 v7, 0x100000, v2, -1
	v_lshlrev_b32_e64 v10, v2, 0x80000
	s_delay_alu instid0(VALU_DEP_4) | instskip(NEXT) | instid1(VALU_DEP_4)
	v_add_nc_u32_e32 v2, v2, v0
	v_bfe_u32 v9, v8, 20, 1
	s_delay_alu instid0(VALU_DEP_4) | instskip(NEXT) | instid1(VALU_DEP_2)
	v_and_b32_e32 v1, v7, v1
	v_add_nc_u32_e32 v7, -1, v9
	s_delay_alu instid0(VALU_DEP_2) | instskip(SKIP_1) | instid1(VALU_DEP_1)
	v_cmp_eq_u32_e64 s0, v1, v10
	s_wait_alu 0xf1ff
	v_cndmask_b32_e64 v1, 0, v7, s0
	v_lshrrev_b32_e32 v7, 23, v8
	s_mov_b32 s0, exec_lo
	s_delay_alu instid0(VALU_DEP_2) | instskip(NEXT) | instid1(VALU_DEP_2)
	v_add_nc_u32_e32 v1, v1, v8
	v_xor_b32_e32 v7, 1, v7
	s_delay_alu instid0(VALU_DEP_2) | instskip(NEXT) | instid1(VALU_DEP_1)
	v_and_b32_e32 v0, 0xfffff, v1
	v_add_nc_u32_e32 v1, v0, v8
                                        ; implicit-def: $vgpr0
	s_delay_alu instid0(VALU_DEP_3)
	v_cmpx_ne_u32_e64 v2, v7
	s_wait_alu 0xfffe
	s_xor_b32 s0, exec_lo, s0
; %bb.989:
	s_delay_alu instid0(VALU_DEP_2) | instskip(SKIP_3) | instid1(VALU_DEP_2)
	v_cmp_lt_u32_e32 vcc_lo, 0xffffff, v1
	v_sub_nc_u32_e32 v0, v2, v7
	s_wait_alu 0xfffd
	v_cndmask_b32_e64 v2, 0, 1, vcc_lo
	v_add_co_ci_u32_e64 v0, null, 0, v0, vcc_lo
	s_delay_alu instid0(VALU_DEP_2)
	v_lshrrev_b32_e32 v1, v2, v1
; %bb.990:
	s_wait_alu 0xfffe
	s_and_not1_saveexec_b32 s0, s0
; %bb.991:
	s_delay_alu instid0(VALU_DEP_1)
	v_bfe_u32 v0, v1, 23, 1
; %bb.992:
	s_wait_alu 0xfffe
	s_or_b32 exec_lo, exec_lo, s0
	v_lshrrev_b32_e32 v1, 20, v1
	s_delay_alu instid0(VALU_DEP_2) | instskip(SKIP_3) | instid1(VALU_DEP_2)
	v_cmp_gt_i32_e32 vcc_lo, 16, v0
	v_lshrrev_b32_e32 v2, 24, v3
	v_min_i32_e32 v3, 15, v0
	s_wait_alu 0xfffd
	v_dual_cndmask_b32 v1, 7, v1 :: v_dual_and_b32 v2, 0x80, v2
	s_delay_alu instid0(VALU_DEP_2) | instskip(NEXT) | instid1(VALU_DEP_2)
	v_lshlrev_b32_e32 v3, 3, v3
	v_and_b32_e32 v7, 7, v1
	v_or_b32_e32 v0, v0, v1
	s_delay_alu instid0(VALU_DEP_2) | instskip(NEXT) | instid1(VALU_DEP_2)
	v_or3_b32 v2, v2, v3, v7
	v_cmp_ne_u32_e32 vcc_lo, 0, v0
	s_delay_alu instid0(VALU_DEP_2) | instskip(SKIP_1) | instid1(VALU_DEP_1)
	v_lshlrev_b32_e32 v1, 24, v2
	s_wait_alu 0xfffd
	v_cndmask_b32_e32 v7, 0, v1, vcc_lo
.LBB3_993:
	s_wait_alu 0xfffe
	s_or_b32 exec_lo, exec_lo, s6
.LBB3_994:
	s_delay_alu instid0(SALU_CYCLE_1)
	s_or_b32 exec_lo, exec_lo, s2
	ds_load_b128 v[0:3], v208 offset:16
	v_or_b32_e32 v5, v5, v4
	v_add_nc_u32_e32 v4, s4, v28
	s_mov_b32 s0, s14
	s_mov_b32 s2, s5
	s_delay_alu instid0(VALU_DEP_2)
	v_or3_b32 v6, v6, v5, v7
	v_mov_b32_e32 v5, 0x80
	buffer_store_b32 v6, v4, s[0:3], null offen
	s_mov_b32 s2, exec_lo
	s_wait_dscnt 0x0
	v_and_b32_e32 v8, 0x7f800000, v0
	s_delay_alu instid0(VALU_DEP_1)
	v_cmpx_ne_u32_e32 0x7f800000, v8
	s_cbranch_execz .LBB3_1002
; %bb.995:
	v_mov_b32_e32 v5, 0
	s_mov_b32 s4, exec_lo
	v_cmpx_ne_u32_e32 0, v0
	s_cbranch_execz .LBB3_1001
; %bb.996:
	v_bfe_u32 v5, v0, 23, 8
	s_delay_alu instid0(VALU_DEP_1) | instskip(SKIP_2) | instid1(VALU_DEP_2)
	v_sub_nc_u32_e32 v7, 0x78, v5
	v_cmp_gt_u32_e32 vcc_lo, 0x79, v5
	s_wait_alu 0xfffd
	v_dual_cndmask_b32 v7, 0, v7 :: v_dual_and_b32 v6, 0x7fffff, v0
	s_delay_alu instid0(VALU_DEP_1) | instskip(SKIP_2) | instid1(VALU_DEP_2)
	v_or_b32_e32 v8, 0x800000, v6
	v_cmp_eq_u32_e32 vcc_lo, 0, v5
	s_wait_alu 0xfffd
	v_dual_cndmask_b32 v6, v8, v6 :: v_dual_add_nc_u32 v5, 0xffffff89, v5
	v_cndmask_b32_e64 v7, v7, 0x77, vcc_lo
	s_delay_alu instid0(VALU_DEP_2) | instskip(NEXT) | instid1(VALU_DEP_2)
	v_cndmask_b32_e64 v5, v5, 0xffffff8a, vcc_lo
	v_lshrrev_b32_e32 v9, v7, v6
	v_lshl_add_u32 v8, 0x100000, v7, -1
	v_lshlrev_b32_e64 v11, v7, 0x80000
	s_delay_alu instid0(VALU_DEP_4) | instskip(NEXT) | instid1(VALU_DEP_4)
	v_add_nc_u32_e32 v7, v7, v5
	v_bfe_u32 v10, v9, 20, 1
	s_delay_alu instid0(VALU_DEP_4) | instskip(NEXT) | instid1(VALU_DEP_2)
	v_and_b32_e32 v6, v8, v6
	v_add_nc_u32_e32 v8, -1, v10
	s_delay_alu instid0(VALU_DEP_2) | instskip(SKIP_1) | instid1(VALU_DEP_1)
	v_cmp_eq_u32_e64 s0, v6, v11
	s_wait_alu 0xf1ff
	v_cndmask_b32_e64 v6, 0, v8, s0
	v_lshrrev_b32_e32 v8, 23, v9
	s_mov_b32 s0, exec_lo
	s_delay_alu instid0(VALU_DEP_2) | instskip(NEXT) | instid1(VALU_DEP_2)
	v_add_nc_u32_e32 v6, v6, v9
	v_xor_b32_e32 v8, 1, v8
	s_delay_alu instid0(VALU_DEP_2) | instskip(NEXT) | instid1(VALU_DEP_1)
	v_and_b32_e32 v5, 0xfffff, v6
	v_add_nc_u32_e32 v6, v5, v9
                                        ; implicit-def: $vgpr5
	s_delay_alu instid0(VALU_DEP_3)
	v_cmpx_ne_u32_e64 v7, v8
	s_wait_alu 0xfffe
	s_xor_b32 s0, exec_lo, s0
; %bb.997:
	s_delay_alu instid0(VALU_DEP_2) | instskip(SKIP_3) | instid1(VALU_DEP_2)
	v_cmp_lt_u32_e32 vcc_lo, 0xffffff, v6
	v_sub_nc_u32_e32 v5, v7, v8
	s_wait_alu 0xfffd
	v_cndmask_b32_e64 v7, 0, 1, vcc_lo
	v_add_co_ci_u32_e64 v5, null, 0, v5, vcc_lo
	s_delay_alu instid0(VALU_DEP_2)
	v_lshrrev_b32_e32 v6, v7, v6
; %bb.998:
	s_wait_alu 0xfffe
	s_and_not1_saveexec_b32 s0, s0
; %bb.999:
	s_delay_alu instid0(VALU_DEP_1)
	v_bfe_u32 v5, v6, 23, 1
; %bb.1000:
	s_wait_alu 0xfffe
	s_or_b32 exec_lo, exec_lo, s0
	v_lshrrev_b32_e32 v6, 20, v6
	s_delay_alu instid0(VALU_DEP_2) | instskip(SKIP_3) | instid1(VALU_DEP_2)
	v_cmp_gt_i32_e32 vcc_lo, 16, v5
	v_min_i32_e32 v7, 15, v5
	v_lshrrev_b32_e32 v0, 24, v0
	s_wait_alu 0xfffd
	v_dual_cndmask_b32 v6, 7, v6 :: v_dual_lshlrev_b32 v7, 3, v7
	s_delay_alu instid0(VALU_DEP_2) | instskip(NEXT) | instid1(VALU_DEP_2)
	v_and_b32_e32 v0, 0x80, v0
	v_or_b32_e32 v5, v5, v6
	s_delay_alu instid0(VALU_DEP_3) | instskip(NEXT) | instid1(VALU_DEP_2)
	v_and_b32_e32 v7, 0xf8, v7
	v_cmp_ne_u32_e32 vcc_lo, 0, v5
	v_and_b32_e32 v8, 7, v6
	s_delay_alu instid0(VALU_DEP_1) | instskip(SKIP_1) | instid1(VALU_DEP_1)
	v_or3_b32 v0, v7, v0, v8
	s_wait_alu 0xfffd
	v_cndmask_b32_e32 v5, 0, v0, vcc_lo
.LBB3_1001:
	s_wait_alu 0xfffe
	s_or_b32 exec_lo, exec_lo, s4
.LBB3_1002:
	s_delay_alu instid0(SALU_CYCLE_1) | instskip(SKIP_1) | instid1(VALU_DEP_1)
	s_or_b32 exec_lo, exec_lo, s2
	v_and_b32_e32 v0, 0x7f800000, v1
	v_cmp_ne_u32_e32 vcc_lo, 0x7f800000, v0
	v_mov_b32_e32 v0, 0x8000
	s_and_saveexec_b32 s2, vcc_lo
	s_cbranch_execz .LBB3_1010
; %bb.1003:
	v_mov_b32_e32 v0, 0
	s_mov_b32 s4, exec_lo
	v_cmpx_ne_u32_e32 0, v1
	s_cbranch_execz .LBB3_1009
; %bb.1004:
	v_bfe_u32 v0, v1, 23, 8
	s_delay_alu instid0(VALU_DEP_1) | instskip(SKIP_2) | instid1(VALU_DEP_2)
	v_sub_nc_u32_e32 v7, 0x78, v0
	v_cmp_gt_u32_e32 vcc_lo, 0x79, v0
	s_wait_alu 0xfffd
	v_dual_cndmask_b32 v7, 0, v7 :: v_dual_and_b32 v6, 0x7fffff, v1
	s_delay_alu instid0(VALU_DEP_1) | instskip(SKIP_4) | instid1(VALU_DEP_2)
	v_or_b32_e32 v8, 0x800000, v6
	v_cmp_eq_u32_e32 vcc_lo, 0, v0
	v_add_nc_u32_e32 v0, 0xffffff89, v0
	s_wait_alu 0xfffd
	v_cndmask_b32_e64 v7, v7, 0x77, vcc_lo
	v_cndmask_b32_e64 v0, v0, 0xffffff8a, vcc_lo
	v_cndmask_b32_e32 v6, v8, v6, vcc_lo
	s_delay_alu instid0(VALU_DEP_3) | instskip(SKIP_1) | instid1(VALU_DEP_3)
	v_lshl_add_u32 v8, 0x100000, v7, -1
	v_lshlrev_b32_e64 v11, v7, 0x80000
	v_lshrrev_b32_e32 v9, v7, v6
	v_add_nc_u32_e32 v7, v7, v0
	s_delay_alu instid0(VALU_DEP_4) | instskip(NEXT) | instid1(VALU_DEP_3)
	v_and_b32_e32 v6, v8, v6
	v_bfe_u32 v10, v9, 20, 1
	s_delay_alu instid0(VALU_DEP_2) | instskip(NEXT) | instid1(VALU_DEP_2)
	v_cmp_eq_u32_e64 s0, v6, v11
	v_add_nc_u32_e32 v8, -1, v10
	s_wait_alu 0xf1ff
	s_delay_alu instid0(VALU_DEP_1) | instskip(SKIP_2) | instid1(VALU_DEP_2)
	v_cndmask_b32_e64 v6, 0, v8, s0
	v_lshrrev_b32_e32 v8, 23, v9
	s_mov_b32 s0, exec_lo
	v_add_nc_u32_e32 v6, v6, v9
	s_delay_alu instid0(VALU_DEP_2) | instskip(NEXT) | instid1(VALU_DEP_2)
	v_xor_b32_e32 v8, 1, v8
	v_and_b32_e32 v0, 0xfffff, v6
	s_delay_alu instid0(VALU_DEP_1) | instskip(NEXT) | instid1(VALU_DEP_3)
	v_add_nc_u32_e32 v6, v0, v9
                                        ; implicit-def: $vgpr0
	v_cmpx_ne_u32_e64 v7, v8
	s_wait_alu 0xfffe
	s_xor_b32 s0, exec_lo, s0
; %bb.1005:
	s_delay_alu instid0(VALU_DEP_2) | instskip(SKIP_3) | instid1(VALU_DEP_2)
	v_cmp_lt_u32_e32 vcc_lo, 0xffffff, v6
	v_sub_nc_u32_e32 v0, v7, v8
	s_wait_alu 0xfffd
	v_cndmask_b32_e64 v7, 0, 1, vcc_lo
	v_add_co_ci_u32_e64 v0, null, 0, v0, vcc_lo
	s_delay_alu instid0(VALU_DEP_2)
	v_lshrrev_b32_e32 v6, v7, v6
; %bb.1006:
	s_wait_alu 0xfffe
	s_and_not1_saveexec_b32 s0, s0
; %bb.1007:
	s_delay_alu instid0(VALU_DEP_1)
	v_bfe_u32 v0, v6, 23, 1
; %bb.1008:
	s_wait_alu 0xfffe
	s_or_b32 exec_lo, exec_lo, s0
	v_lshrrev_b32_e32 v6, 20, v6
	s_delay_alu instid0(VALU_DEP_2) | instskip(SKIP_3) | instid1(VALU_DEP_2)
	v_cmp_gt_i32_e32 vcc_lo, 16, v0
	v_min_i32_e32 v7, 15, v0
	v_lshrrev_b32_e32 v1, 24, v1
	s_wait_alu 0xfffd
	v_dual_cndmask_b32 v6, 7, v6 :: v_dual_lshlrev_b32 v7, 3, v7
	s_delay_alu instid0(VALU_DEP_2) | instskip(NEXT) | instid1(VALU_DEP_2)
	v_and_b32_e32 v1, 0x80, v1
	v_or_b32_e32 v0, v0, v6
	v_and_b32_e32 v8, 7, v6
	s_delay_alu instid0(VALU_DEP_2) | instskip(SKIP_1) | instid1(VALU_DEP_1)
	v_cmp_ne_u32_e32 vcc_lo, 0, v0
	v_and_b32_e32 v7, 0xf8, v7
	v_or3_b32 v1, v1, v7, v8
	s_delay_alu instid0(VALU_DEP_1) | instskip(SKIP_1) | instid1(VALU_DEP_1)
	v_lshlrev_b32_e32 v1, 8, v1
	s_wait_alu 0xfffd
	v_cndmask_b32_e32 v0, 0, v1, vcc_lo
.LBB3_1009:
	s_wait_alu 0xfffe
	s_or_b32 exec_lo, exec_lo, s4
.LBB3_1010:
	s_delay_alu instid0(SALU_CYCLE_1) | instskip(SKIP_1) | instid1(VALU_DEP_1)
	s_or_b32 exec_lo, exec_lo, s2
	v_and_b32_e32 v1, 0x7f800000, v2
	v_cmp_ne_u32_e32 vcc_lo, 0x7f800000, v1
	v_mov_b32_e32 v1, 0x800000
	s_and_saveexec_b32 s2, vcc_lo
	s_cbranch_execz .LBB3_1018
; %bb.1011:
	v_mov_b32_e32 v1, 0
	s_mov_b32 s4, exec_lo
	v_cmpx_ne_u32_e32 0, v2
	s_cbranch_execz .LBB3_1017
; %bb.1012:
	v_bfe_u32 v1, v2, 23, 8
	s_delay_alu instid0(VALU_DEP_1) | instskip(SKIP_2) | instid1(VALU_DEP_2)
	v_sub_nc_u32_e32 v7, 0x78, v1
	v_cmp_gt_u32_e32 vcc_lo, 0x79, v1
	s_wait_alu 0xfffd
	v_dual_cndmask_b32 v7, 0, v7 :: v_dual_and_b32 v6, 0x7fffff, v2
	s_delay_alu instid0(VALU_DEP_1) | instskip(SKIP_2) | instid1(VALU_DEP_2)
	v_or_b32_e32 v8, 0x800000, v6
	v_cmp_eq_u32_e32 vcc_lo, 0, v1
	s_wait_alu 0xfffd
	v_dual_cndmask_b32 v6, v8, v6 :: v_dual_add_nc_u32 v1, 0xffffff89, v1
	v_cndmask_b32_e64 v7, v7, 0x77, vcc_lo
	s_delay_alu instid0(VALU_DEP_2) | instskip(NEXT) | instid1(VALU_DEP_2)
	v_cndmask_b32_e64 v1, v1, 0xffffff8a, vcc_lo
	v_lshrrev_b32_e32 v9, v7, v6
	v_lshl_add_u32 v8, 0x100000, v7, -1
	v_lshlrev_b32_e64 v11, v7, 0x80000
	s_delay_alu instid0(VALU_DEP_4) | instskip(NEXT) | instid1(VALU_DEP_4)
	v_add_nc_u32_e32 v7, v7, v1
	v_bfe_u32 v10, v9, 20, 1
	s_delay_alu instid0(VALU_DEP_4) | instskip(NEXT) | instid1(VALU_DEP_2)
	v_and_b32_e32 v6, v8, v6
	v_add_nc_u32_e32 v8, -1, v10
	s_delay_alu instid0(VALU_DEP_2) | instskip(SKIP_1) | instid1(VALU_DEP_1)
	v_cmp_eq_u32_e64 s0, v6, v11
	s_wait_alu 0xf1ff
	v_cndmask_b32_e64 v6, 0, v8, s0
	v_lshrrev_b32_e32 v8, 23, v9
	s_mov_b32 s0, exec_lo
	s_delay_alu instid0(VALU_DEP_2) | instskip(NEXT) | instid1(VALU_DEP_2)
	v_add_nc_u32_e32 v6, v6, v9
	v_xor_b32_e32 v8, 1, v8
	s_delay_alu instid0(VALU_DEP_2) | instskip(NEXT) | instid1(VALU_DEP_1)
	v_and_b32_e32 v1, 0xfffff, v6
	v_add_nc_u32_e32 v6, v1, v9
                                        ; implicit-def: $vgpr1
	s_delay_alu instid0(VALU_DEP_3)
	v_cmpx_ne_u32_e64 v7, v8
	s_wait_alu 0xfffe
	s_xor_b32 s0, exec_lo, s0
; %bb.1013:
	s_delay_alu instid0(VALU_DEP_2) | instskip(SKIP_3) | instid1(VALU_DEP_2)
	v_cmp_lt_u32_e32 vcc_lo, 0xffffff, v6
	v_sub_nc_u32_e32 v1, v7, v8
	s_wait_alu 0xfffd
	v_cndmask_b32_e64 v7, 0, 1, vcc_lo
	v_add_co_ci_u32_e64 v1, null, 0, v1, vcc_lo
	s_delay_alu instid0(VALU_DEP_2)
	v_lshrrev_b32_e32 v6, v7, v6
; %bb.1014:
	s_wait_alu 0xfffe
	s_and_not1_saveexec_b32 s0, s0
; %bb.1015:
	s_delay_alu instid0(VALU_DEP_1)
	v_bfe_u32 v1, v6, 23, 1
; %bb.1016:
	s_wait_alu 0xfffe
	s_or_b32 exec_lo, exec_lo, s0
	v_lshrrev_b32_e32 v6, 20, v6
	s_delay_alu instid0(VALU_DEP_2) | instskip(SKIP_3) | instid1(VALU_DEP_3)
	v_min_i32_e32 v7, 15, v1
	v_cmp_gt_i32_e32 vcc_lo, 16, v1
	v_lshrrev_b32_e32 v2, 24, v2
	s_wait_alu 0xfffd
	v_dual_cndmask_b32 v6, 7, v6 :: v_dual_lshlrev_b32 v7, 3, v7
	s_delay_alu instid0(VALU_DEP_2) | instskip(NEXT) | instid1(VALU_DEP_2)
	v_and_b32_e32 v2, 0x80, v2
	v_and_b32_e32 v7, 0xf8, v7
	s_delay_alu instid0(VALU_DEP_3) | instskip(SKIP_1) | instid1(VALU_DEP_2)
	v_and_b32_e32 v8, 7, v6
	v_or_b32_e32 v1, v1, v6
	v_or3_b32 v2, v2, v7, v8
	s_delay_alu instid0(VALU_DEP_2) | instskip(NEXT) | instid1(VALU_DEP_2)
	v_cmp_ne_u32_e32 vcc_lo, 0, v1
	v_lshlrev_b32_e32 v2, 16, v2
	s_wait_alu 0xfffd
	s_delay_alu instid0(VALU_DEP_1)
	v_cndmask_b32_e32 v1, 0, v2, vcc_lo
.LBB3_1017:
	s_wait_alu 0xfffe
	s_or_b32 exec_lo, exec_lo, s4
.LBB3_1018:
	s_delay_alu instid0(SALU_CYCLE_1) | instskip(SKIP_1) | instid1(VALU_DEP_1)
	s_or_b32 exec_lo, exec_lo, s2
	v_and_b32_e32 v2, 0x7f800000, v3
	v_cmp_ne_u32_e32 vcc_lo, 0x7f800000, v2
	v_bfrev_b32_e32 v2, 1
	s_and_saveexec_b32 s2, vcc_lo
	s_cbranch_execz .LBB3_1026
; %bb.1019:
	v_mov_b32_e32 v2, 0
	s_mov_b32 s4, exec_lo
	v_cmpx_ne_u32_e32 0, v3
	s_cbranch_execz .LBB3_1025
; %bb.1020:
	v_bfe_u32 v2, v3, 23, 8
	v_and_b32_e32 v6, 0x7fffff, v3
	s_delay_alu instid0(VALU_DEP_2) | instskip(SKIP_1) | instid1(VALU_DEP_3)
	v_sub_nc_u32_e32 v7, 0x78, v2
	v_cmp_gt_u32_e32 vcc_lo, 0x79, v2
	v_or_b32_e32 v8, 0x800000, v6
	s_wait_alu 0xfffd
	s_delay_alu instid0(VALU_DEP_3)
	v_cndmask_b32_e32 v7, 0, v7, vcc_lo
	v_cmp_eq_u32_e32 vcc_lo, 0, v2
	v_add_nc_u32_e32 v2, 0xffffff89, v2
	s_wait_alu 0xfffd
	v_cndmask_b32_e32 v6, v8, v6, vcc_lo
	v_cndmask_b32_e64 v7, v7, 0x77, vcc_lo
	s_delay_alu instid0(VALU_DEP_3) | instskip(NEXT) | instid1(VALU_DEP_2)
	v_cndmask_b32_e64 v2, v2, 0xffffff8a, vcc_lo
	v_lshrrev_b32_e32 v9, v7, v6
	v_lshl_add_u32 v8, 0x100000, v7, -1
	v_lshlrev_b32_e64 v11, v7, 0x80000
	s_delay_alu instid0(VALU_DEP_4) | instskip(NEXT) | instid1(VALU_DEP_4)
	v_add_nc_u32_e32 v7, v7, v2
	v_bfe_u32 v10, v9, 20, 1
	s_delay_alu instid0(VALU_DEP_4) | instskip(NEXT) | instid1(VALU_DEP_2)
	v_and_b32_e32 v6, v8, v6
	v_add_nc_u32_e32 v8, -1, v10
	s_delay_alu instid0(VALU_DEP_2) | instskip(SKIP_1) | instid1(VALU_DEP_1)
	v_cmp_eq_u32_e64 s0, v6, v11
	s_wait_alu 0xf1ff
	v_cndmask_b32_e64 v6, 0, v8, s0
	v_lshrrev_b32_e32 v8, 23, v9
	s_mov_b32 s0, exec_lo
	s_delay_alu instid0(VALU_DEP_2) | instskip(NEXT) | instid1(VALU_DEP_2)
	v_add_nc_u32_e32 v6, v6, v9
	v_xor_b32_e32 v8, 1, v8
	s_delay_alu instid0(VALU_DEP_2) | instskip(NEXT) | instid1(VALU_DEP_1)
	v_and_b32_e32 v2, 0xfffff, v6
	v_add_nc_u32_e32 v6, v2, v9
                                        ; implicit-def: $vgpr2
	s_delay_alu instid0(VALU_DEP_3)
	v_cmpx_ne_u32_e64 v7, v8
	s_wait_alu 0xfffe
	s_xor_b32 s0, exec_lo, s0
; %bb.1021:
	s_delay_alu instid0(VALU_DEP_2) | instskip(SKIP_3) | instid1(VALU_DEP_2)
	v_cmp_lt_u32_e32 vcc_lo, 0xffffff, v6
	v_sub_nc_u32_e32 v2, v7, v8
	s_wait_alu 0xfffd
	v_cndmask_b32_e64 v7, 0, 1, vcc_lo
	v_add_co_ci_u32_e64 v2, null, 0, v2, vcc_lo
	s_delay_alu instid0(VALU_DEP_2)
	v_lshrrev_b32_e32 v6, v7, v6
; %bb.1022:
	s_wait_alu 0xfffe
	s_and_not1_saveexec_b32 s0, s0
; %bb.1023:
	s_delay_alu instid0(VALU_DEP_1)
	v_bfe_u32 v2, v6, 23, 1
; %bb.1024:
	s_wait_alu 0xfffe
	s_or_b32 exec_lo, exec_lo, s0
	v_lshrrev_b32_e32 v6, 20, v6
	s_delay_alu instid0(VALU_DEP_2) | instskip(SKIP_3) | instid1(VALU_DEP_2)
	v_cmp_gt_i32_e32 vcc_lo, 16, v2
	v_lshrrev_b32_e32 v3, 24, v3
	v_min_i32_e32 v7, 15, v2
	s_wait_alu 0xfffd
	v_dual_cndmask_b32 v6, 7, v6 :: v_dual_and_b32 v3, 0x80, v3
	s_delay_alu instid0(VALU_DEP_2) | instskip(NEXT) | instid1(VALU_DEP_2)
	v_lshlrev_b32_e32 v7, 3, v7
	v_and_b32_e32 v8, 7, v6
	v_or_b32_e32 v2, v2, v6
	s_delay_alu instid0(VALU_DEP_2) | instskip(NEXT) | instid1(VALU_DEP_2)
	v_or3_b32 v3, v3, v7, v8
	v_cmp_ne_u32_e32 vcc_lo, 0, v2
	s_delay_alu instid0(VALU_DEP_2) | instskip(SKIP_1) | instid1(VALU_DEP_1)
	v_lshlrev_b32_e32 v3, 24, v3
	s_wait_alu 0xfffd
	v_cndmask_b32_e32 v2, 0, v3, vcc_lo
.LBB3_1025:
	s_wait_alu 0xfffe
	s_or_b32 exec_lo, exec_lo, s4
.LBB3_1026:
	s_delay_alu instid0(SALU_CYCLE_1) | instskip(SKIP_3) | instid1(VALU_DEP_1)
	s_or_b32 exec_lo, exec_lo, s2
	v_or_b32_e32 v0, v0, v5
	s_mov_b32 s0, s14
	s_mov_b32 s2, s5
	v_or3_b32 v0, v1, v0, v2
	buffer_store_b32 v0, v4, s[0:3], null offen offset:4
	s_nop 0
	s_sendmsg sendmsg(MSG_DEALLOC_VGPRS)
	s_endpgm
	.section	.rodata,"a",@progbits
	.p2align	6, 0x0
	.amdhsa_kernel _ZN2ck27kernel_gemm_xdl_cshuffle_v1INS_43GridwiseGemm_k0mk1_k0nk1_mn_xdl_cshuffle_v1INS_13tensor_layout4gemm8RowMajorENS3_11ColumnMajorES4_NS_9f8_fnuz_tES6_ffS6_NS_16tensor_operation12element_wise11PassThroughES9_S9_LNS7_6device18GemmSpecializationE0ELNS_25InMemoryDataOperationEnumE0ELi1ELi256ELi256ELi128ELi64ELi16ELi16ELi16ELi16ELi8ELi2ENS_8SequenceIJLi4ELi64ELi1EEEENSD_IJLi1ELi0ELi2EEEESF_Li2ELi16ELi16ELb0ELi1ESE_SF_SF_Li2ELi8ELi8ELb0ELi1ELi1ELi1ENSD_IJLi1ELi32ELi1ELi8EEEELi4ELNS_13LoopSchedulerE0ELNS_15PipelineVersionE0ES6_S6_EELb1EEEvNT_8ArgumentE
		.amdhsa_group_segment_fixed_size 24672
		.amdhsa_private_segment_fixed_size 0
		.amdhsa_kernarg_size 96
		.amdhsa_user_sgpr_count 2
		.amdhsa_user_sgpr_dispatch_ptr 0
		.amdhsa_user_sgpr_queue_ptr 0
		.amdhsa_user_sgpr_kernarg_segment_ptr 1
		.amdhsa_user_sgpr_dispatch_id 0
		.amdhsa_user_sgpr_private_segment_size 0
		.amdhsa_wavefront_size32 1
		.amdhsa_uses_dynamic_stack 0
		.amdhsa_enable_private_segment 0
		.amdhsa_system_sgpr_workgroup_id_x 1
		.amdhsa_system_sgpr_workgroup_id_y 0
		.amdhsa_system_sgpr_workgroup_id_z 0
		.amdhsa_system_sgpr_workgroup_info 0
		.amdhsa_system_vgpr_workitem_id 0
		.amdhsa_next_free_vgpr 215
		.amdhsa_next_free_sgpr 32
		.amdhsa_reserve_vcc 1
		.amdhsa_float_round_mode_32 0
		.amdhsa_float_round_mode_16_64 0
		.amdhsa_float_denorm_mode_32 3
		.amdhsa_float_denorm_mode_16_64 3
		.amdhsa_fp16_overflow 0
		.amdhsa_workgroup_processor_mode 1
		.amdhsa_memory_ordered 1
		.amdhsa_forward_progress 1
		.amdhsa_inst_pref_size 255
		.amdhsa_round_robin_scheduling 0
		.amdhsa_exception_fp_ieee_invalid_op 0
		.amdhsa_exception_fp_denorm_src 0
		.amdhsa_exception_fp_ieee_div_zero 0
		.amdhsa_exception_fp_ieee_overflow 0
		.amdhsa_exception_fp_ieee_underflow 0
		.amdhsa_exception_fp_ieee_inexact 0
		.amdhsa_exception_int_div_zero 0
	.end_amdhsa_kernel
	.section	.text._ZN2ck27kernel_gemm_xdl_cshuffle_v1INS_43GridwiseGemm_k0mk1_k0nk1_mn_xdl_cshuffle_v1INS_13tensor_layout4gemm8RowMajorENS3_11ColumnMajorES4_NS_9f8_fnuz_tES6_ffS6_NS_16tensor_operation12element_wise11PassThroughES9_S9_LNS7_6device18GemmSpecializationE0ELNS_25InMemoryDataOperationEnumE0ELi1ELi256ELi256ELi128ELi64ELi16ELi16ELi16ELi16ELi8ELi2ENS_8SequenceIJLi4ELi64ELi1EEEENSD_IJLi1ELi0ELi2EEEESF_Li2ELi16ELi16ELb0ELi1ESE_SF_SF_Li2ELi8ELi8ELb0ELi1ELi1ELi1ENSD_IJLi1ELi32ELi1ELi8EEEELi4ELNS_13LoopSchedulerE0ELNS_15PipelineVersionE0ES6_S6_EELb1EEEvNT_8ArgumentE,"axG",@progbits,_ZN2ck27kernel_gemm_xdl_cshuffle_v1INS_43GridwiseGemm_k0mk1_k0nk1_mn_xdl_cshuffle_v1INS_13tensor_layout4gemm8RowMajorENS3_11ColumnMajorES4_NS_9f8_fnuz_tES6_ffS6_NS_16tensor_operation12element_wise11PassThroughES9_S9_LNS7_6device18GemmSpecializationE0ELNS_25InMemoryDataOperationEnumE0ELi1ELi256ELi256ELi128ELi64ELi16ELi16ELi16ELi16ELi8ELi2ENS_8SequenceIJLi4ELi64ELi1EEEENSD_IJLi1ELi0ELi2EEEESF_Li2ELi16ELi16ELb0ELi1ESE_SF_SF_Li2ELi8ELi8ELb0ELi1ELi1ELi1ENSD_IJLi1ELi32ELi1ELi8EEEELi4ELNS_13LoopSchedulerE0ELNS_15PipelineVersionE0ES6_S6_EELb1EEEvNT_8ArgumentE,comdat
.Lfunc_end3:
	.size	_ZN2ck27kernel_gemm_xdl_cshuffle_v1INS_43GridwiseGemm_k0mk1_k0nk1_mn_xdl_cshuffle_v1INS_13tensor_layout4gemm8RowMajorENS3_11ColumnMajorES4_NS_9f8_fnuz_tES6_ffS6_NS_16tensor_operation12element_wise11PassThroughES9_S9_LNS7_6device18GemmSpecializationE0ELNS_25InMemoryDataOperationEnumE0ELi1ELi256ELi256ELi128ELi64ELi16ELi16ELi16ELi16ELi8ELi2ENS_8SequenceIJLi4ELi64ELi1EEEENSD_IJLi1ELi0ELi2EEEESF_Li2ELi16ELi16ELb0ELi1ESE_SF_SF_Li2ELi8ELi8ELb0ELi1ELi1ELi1ENSD_IJLi1ELi32ELi1ELi8EEEELi4ELNS_13LoopSchedulerE0ELNS_15PipelineVersionE0ES6_S6_EELb1EEEvNT_8ArgumentE, .Lfunc_end3-_ZN2ck27kernel_gemm_xdl_cshuffle_v1INS_43GridwiseGemm_k0mk1_k0nk1_mn_xdl_cshuffle_v1INS_13tensor_layout4gemm8RowMajorENS3_11ColumnMajorES4_NS_9f8_fnuz_tES6_ffS6_NS_16tensor_operation12element_wise11PassThroughES9_S9_LNS7_6device18GemmSpecializationE0ELNS_25InMemoryDataOperationEnumE0ELi1ELi256ELi256ELi128ELi64ELi16ELi16ELi16ELi16ELi8ELi2ENS_8SequenceIJLi4ELi64ELi1EEEENSD_IJLi1ELi0ELi2EEEESF_Li2ELi16ELi16ELb0ELi1ESE_SF_SF_Li2ELi8ELi8ELb0ELi1ELi1ELi1ENSD_IJLi1ELi32ELi1ELi8EEEELi4ELNS_13LoopSchedulerE0ELNS_15PipelineVersionE0ES6_S6_EELb1EEEvNT_8ArgumentE
                                        ; -- End function
	.set _ZN2ck27kernel_gemm_xdl_cshuffle_v1INS_43GridwiseGemm_k0mk1_k0nk1_mn_xdl_cshuffle_v1INS_13tensor_layout4gemm8RowMajorENS3_11ColumnMajorES4_NS_9f8_fnuz_tES6_ffS6_NS_16tensor_operation12element_wise11PassThroughES9_S9_LNS7_6device18GemmSpecializationE0ELNS_25InMemoryDataOperationEnumE0ELi1ELi256ELi256ELi128ELi64ELi16ELi16ELi16ELi16ELi8ELi2ENS_8SequenceIJLi4ELi64ELi1EEEENSD_IJLi1ELi0ELi2EEEESF_Li2ELi16ELi16ELb0ELi1ESE_SF_SF_Li2ELi8ELi8ELb0ELi1ELi1ELi1ENSD_IJLi1ELi32ELi1ELi8EEEELi4ELNS_13LoopSchedulerE0ELNS_15PipelineVersionE0ES6_S6_EELb1EEEvNT_8ArgumentE.num_vgpr, 215
	.set _ZN2ck27kernel_gemm_xdl_cshuffle_v1INS_43GridwiseGemm_k0mk1_k0nk1_mn_xdl_cshuffle_v1INS_13tensor_layout4gemm8RowMajorENS3_11ColumnMajorES4_NS_9f8_fnuz_tES6_ffS6_NS_16tensor_operation12element_wise11PassThroughES9_S9_LNS7_6device18GemmSpecializationE0ELNS_25InMemoryDataOperationEnumE0ELi1ELi256ELi256ELi128ELi64ELi16ELi16ELi16ELi16ELi8ELi2ENS_8SequenceIJLi4ELi64ELi1EEEENSD_IJLi1ELi0ELi2EEEESF_Li2ELi16ELi16ELb0ELi1ESE_SF_SF_Li2ELi8ELi8ELb0ELi1ELi1ELi1ENSD_IJLi1ELi32ELi1ELi8EEEELi4ELNS_13LoopSchedulerE0ELNS_15PipelineVersionE0ES6_S6_EELb1EEEvNT_8ArgumentE.num_agpr, 0
	.set _ZN2ck27kernel_gemm_xdl_cshuffle_v1INS_43GridwiseGemm_k0mk1_k0nk1_mn_xdl_cshuffle_v1INS_13tensor_layout4gemm8RowMajorENS3_11ColumnMajorES4_NS_9f8_fnuz_tES6_ffS6_NS_16tensor_operation12element_wise11PassThroughES9_S9_LNS7_6device18GemmSpecializationE0ELNS_25InMemoryDataOperationEnumE0ELi1ELi256ELi256ELi128ELi64ELi16ELi16ELi16ELi16ELi8ELi2ENS_8SequenceIJLi4ELi64ELi1EEEENSD_IJLi1ELi0ELi2EEEESF_Li2ELi16ELi16ELb0ELi1ESE_SF_SF_Li2ELi8ELi8ELb0ELi1ELi1ELi1ENSD_IJLi1ELi32ELi1ELi8EEEELi4ELNS_13LoopSchedulerE0ELNS_15PipelineVersionE0ES6_S6_EELb1EEEvNT_8ArgumentE.numbered_sgpr, 32
	.set _ZN2ck27kernel_gemm_xdl_cshuffle_v1INS_43GridwiseGemm_k0mk1_k0nk1_mn_xdl_cshuffle_v1INS_13tensor_layout4gemm8RowMajorENS3_11ColumnMajorES4_NS_9f8_fnuz_tES6_ffS6_NS_16tensor_operation12element_wise11PassThroughES9_S9_LNS7_6device18GemmSpecializationE0ELNS_25InMemoryDataOperationEnumE0ELi1ELi256ELi256ELi128ELi64ELi16ELi16ELi16ELi16ELi8ELi2ENS_8SequenceIJLi4ELi64ELi1EEEENSD_IJLi1ELi0ELi2EEEESF_Li2ELi16ELi16ELb0ELi1ESE_SF_SF_Li2ELi8ELi8ELb0ELi1ELi1ELi1ENSD_IJLi1ELi32ELi1ELi8EEEELi4ELNS_13LoopSchedulerE0ELNS_15PipelineVersionE0ES6_S6_EELb1EEEvNT_8ArgumentE.num_named_barrier, 0
	.set _ZN2ck27kernel_gemm_xdl_cshuffle_v1INS_43GridwiseGemm_k0mk1_k0nk1_mn_xdl_cshuffle_v1INS_13tensor_layout4gemm8RowMajorENS3_11ColumnMajorES4_NS_9f8_fnuz_tES6_ffS6_NS_16tensor_operation12element_wise11PassThroughES9_S9_LNS7_6device18GemmSpecializationE0ELNS_25InMemoryDataOperationEnumE0ELi1ELi256ELi256ELi128ELi64ELi16ELi16ELi16ELi16ELi8ELi2ENS_8SequenceIJLi4ELi64ELi1EEEENSD_IJLi1ELi0ELi2EEEESF_Li2ELi16ELi16ELb0ELi1ESE_SF_SF_Li2ELi8ELi8ELb0ELi1ELi1ELi1ENSD_IJLi1ELi32ELi1ELi8EEEELi4ELNS_13LoopSchedulerE0ELNS_15PipelineVersionE0ES6_S6_EELb1EEEvNT_8ArgumentE.private_seg_size, 0
	.set _ZN2ck27kernel_gemm_xdl_cshuffle_v1INS_43GridwiseGemm_k0mk1_k0nk1_mn_xdl_cshuffle_v1INS_13tensor_layout4gemm8RowMajorENS3_11ColumnMajorES4_NS_9f8_fnuz_tES6_ffS6_NS_16tensor_operation12element_wise11PassThroughES9_S9_LNS7_6device18GemmSpecializationE0ELNS_25InMemoryDataOperationEnumE0ELi1ELi256ELi256ELi128ELi64ELi16ELi16ELi16ELi16ELi8ELi2ENS_8SequenceIJLi4ELi64ELi1EEEENSD_IJLi1ELi0ELi2EEEESF_Li2ELi16ELi16ELb0ELi1ESE_SF_SF_Li2ELi8ELi8ELb0ELi1ELi1ELi1ENSD_IJLi1ELi32ELi1ELi8EEEELi4ELNS_13LoopSchedulerE0ELNS_15PipelineVersionE0ES6_S6_EELb1EEEvNT_8ArgumentE.uses_vcc, 1
	.set _ZN2ck27kernel_gemm_xdl_cshuffle_v1INS_43GridwiseGemm_k0mk1_k0nk1_mn_xdl_cshuffle_v1INS_13tensor_layout4gemm8RowMajorENS3_11ColumnMajorES4_NS_9f8_fnuz_tES6_ffS6_NS_16tensor_operation12element_wise11PassThroughES9_S9_LNS7_6device18GemmSpecializationE0ELNS_25InMemoryDataOperationEnumE0ELi1ELi256ELi256ELi128ELi64ELi16ELi16ELi16ELi16ELi8ELi2ENS_8SequenceIJLi4ELi64ELi1EEEENSD_IJLi1ELi0ELi2EEEESF_Li2ELi16ELi16ELb0ELi1ESE_SF_SF_Li2ELi8ELi8ELb0ELi1ELi1ELi1ENSD_IJLi1ELi32ELi1ELi8EEEELi4ELNS_13LoopSchedulerE0ELNS_15PipelineVersionE0ES6_S6_EELb1EEEvNT_8ArgumentE.uses_flat_scratch, 0
	.set _ZN2ck27kernel_gemm_xdl_cshuffle_v1INS_43GridwiseGemm_k0mk1_k0nk1_mn_xdl_cshuffle_v1INS_13tensor_layout4gemm8RowMajorENS3_11ColumnMajorES4_NS_9f8_fnuz_tES6_ffS6_NS_16tensor_operation12element_wise11PassThroughES9_S9_LNS7_6device18GemmSpecializationE0ELNS_25InMemoryDataOperationEnumE0ELi1ELi256ELi256ELi128ELi64ELi16ELi16ELi16ELi16ELi8ELi2ENS_8SequenceIJLi4ELi64ELi1EEEENSD_IJLi1ELi0ELi2EEEESF_Li2ELi16ELi16ELb0ELi1ESE_SF_SF_Li2ELi8ELi8ELb0ELi1ELi1ELi1ENSD_IJLi1ELi32ELi1ELi8EEEELi4ELNS_13LoopSchedulerE0ELNS_15PipelineVersionE0ES6_S6_EELb1EEEvNT_8ArgumentE.has_dyn_sized_stack, 0
	.set _ZN2ck27kernel_gemm_xdl_cshuffle_v1INS_43GridwiseGemm_k0mk1_k0nk1_mn_xdl_cshuffle_v1INS_13tensor_layout4gemm8RowMajorENS3_11ColumnMajorES4_NS_9f8_fnuz_tES6_ffS6_NS_16tensor_operation12element_wise11PassThroughES9_S9_LNS7_6device18GemmSpecializationE0ELNS_25InMemoryDataOperationEnumE0ELi1ELi256ELi256ELi128ELi64ELi16ELi16ELi16ELi16ELi8ELi2ENS_8SequenceIJLi4ELi64ELi1EEEENSD_IJLi1ELi0ELi2EEEESF_Li2ELi16ELi16ELb0ELi1ESE_SF_SF_Li2ELi8ELi8ELb0ELi1ELi1ELi1ENSD_IJLi1ELi32ELi1ELi8EEEELi4ELNS_13LoopSchedulerE0ELNS_15PipelineVersionE0ES6_S6_EELb1EEEvNT_8ArgumentE.has_recursion, 0
	.set _ZN2ck27kernel_gemm_xdl_cshuffle_v1INS_43GridwiseGemm_k0mk1_k0nk1_mn_xdl_cshuffle_v1INS_13tensor_layout4gemm8RowMajorENS3_11ColumnMajorES4_NS_9f8_fnuz_tES6_ffS6_NS_16tensor_operation12element_wise11PassThroughES9_S9_LNS7_6device18GemmSpecializationE0ELNS_25InMemoryDataOperationEnumE0ELi1ELi256ELi256ELi128ELi64ELi16ELi16ELi16ELi16ELi8ELi2ENS_8SequenceIJLi4ELi64ELi1EEEENSD_IJLi1ELi0ELi2EEEESF_Li2ELi16ELi16ELb0ELi1ESE_SF_SF_Li2ELi8ELi8ELb0ELi1ELi1ELi1ENSD_IJLi1ELi32ELi1ELi8EEEELi4ELNS_13LoopSchedulerE0ELNS_15PipelineVersionE0ES6_S6_EELb1EEEvNT_8ArgumentE.has_indirect_call, 0
	.section	.AMDGPU.csdata,"",@progbits
; Kernel info:
; codeLenInByte = 65696
; TotalNumSgprs: 34
; NumVgprs: 215
; ScratchSize: 0
; MemoryBound: 0
; FloatMode: 240
; IeeeMode: 1
; LDSByteSize: 24672 bytes/workgroup (compile time only)
; SGPRBlocks: 0
; VGPRBlocks: 26
; NumSGPRsForWavesPerEU: 34
; NumVGPRsForWavesPerEU: 215
; Occupancy: 7
; WaveLimiterHint : 0
; COMPUTE_PGM_RSRC2:SCRATCH_EN: 0
; COMPUTE_PGM_RSRC2:USER_SGPR: 2
; COMPUTE_PGM_RSRC2:TRAP_HANDLER: 0
; COMPUTE_PGM_RSRC2:TGID_X_EN: 1
; COMPUTE_PGM_RSRC2:TGID_Y_EN: 0
; COMPUTE_PGM_RSRC2:TGID_Z_EN: 0
; COMPUTE_PGM_RSRC2:TIDIG_COMP_CNT: 0
	.section	.text._ZN2ck27kernel_gemm_xdl_cshuffle_v1INS_43GridwiseGemm_k0mk1_k0nk1_mn_xdl_cshuffle_v1INS_13tensor_layout4gemm8RowMajorENS3_11ColumnMajorES4_NS_9f8_fnuz_tES6_ffS6_NS_16tensor_operation12element_wise11PassThroughES9_S9_LNS7_6device18GemmSpecializationE0ELNS_25InMemoryDataOperationEnumE0ELi1ELi256ELi256ELi128ELi64ELi16ELi16ELi16ELi16ELi8ELi2ENS_8SequenceIJLi4ELi64ELi1EEEENSD_IJLi1ELi0ELi2EEEESF_Li2ELi16ELi16ELb0ELi1ESE_SF_SF_Li2ELi8ELi8ELb0ELi1ELi1ELi1ENSD_IJLi1ELi32ELi1ELi8EEEELi4ELNS_13LoopSchedulerE0ELNS_15PipelineVersionE0ES6_S6_EELb0EEEvNT_8ArgumentE,"axG",@progbits,_ZN2ck27kernel_gemm_xdl_cshuffle_v1INS_43GridwiseGemm_k0mk1_k0nk1_mn_xdl_cshuffle_v1INS_13tensor_layout4gemm8RowMajorENS3_11ColumnMajorES4_NS_9f8_fnuz_tES6_ffS6_NS_16tensor_operation12element_wise11PassThroughES9_S9_LNS7_6device18GemmSpecializationE0ELNS_25InMemoryDataOperationEnumE0ELi1ELi256ELi256ELi128ELi64ELi16ELi16ELi16ELi16ELi8ELi2ENS_8SequenceIJLi4ELi64ELi1EEEENSD_IJLi1ELi0ELi2EEEESF_Li2ELi16ELi16ELb0ELi1ESE_SF_SF_Li2ELi8ELi8ELb0ELi1ELi1ELi1ENSD_IJLi1ELi32ELi1ELi8EEEELi4ELNS_13LoopSchedulerE0ELNS_15PipelineVersionE0ES6_S6_EELb0EEEvNT_8ArgumentE,comdat
	.protected	_ZN2ck27kernel_gemm_xdl_cshuffle_v1INS_43GridwiseGemm_k0mk1_k0nk1_mn_xdl_cshuffle_v1INS_13tensor_layout4gemm8RowMajorENS3_11ColumnMajorES4_NS_9f8_fnuz_tES6_ffS6_NS_16tensor_operation12element_wise11PassThroughES9_S9_LNS7_6device18GemmSpecializationE0ELNS_25InMemoryDataOperationEnumE0ELi1ELi256ELi256ELi128ELi64ELi16ELi16ELi16ELi16ELi8ELi2ENS_8SequenceIJLi4ELi64ELi1EEEENSD_IJLi1ELi0ELi2EEEESF_Li2ELi16ELi16ELb0ELi1ESE_SF_SF_Li2ELi8ELi8ELb0ELi1ELi1ELi1ENSD_IJLi1ELi32ELi1ELi8EEEELi4ELNS_13LoopSchedulerE0ELNS_15PipelineVersionE0ES6_S6_EELb0EEEvNT_8ArgumentE ; -- Begin function _ZN2ck27kernel_gemm_xdl_cshuffle_v1INS_43GridwiseGemm_k0mk1_k0nk1_mn_xdl_cshuffle_v1INS_13tensor_layout4gemm8RowMajorENS3_11ColumnMajorES4_NS_9f8_fnuz_tES6_ffS6_NS_16tensor_operation12element_wise11PassThroughES9_S9_LNS7_6device18GemmSpecializationE0ELNS_25InMemoryDataOperationEnumE0ELi1ELi256ELi256ELi128ELi64ELi16ELi16ELi16ELi16ELi8ELi2ENS_8SequenceIJLi4ELi64ELi1EEEENSD_IJLi1ELi0ELi2EEEESF_Li2ELi16ELi16ELb0ELi1ESE_SF_SF_Li2ELi8ELi8ELb0ELi1ELi1ELi1ENSD_IJLi1ELi32ELi1ELi8EEEELi4ELNS_13LoopSchedulerE0ELNS_15PipelineVersionE0ES6_S6_EELb0EEEvNT_8ArgumentE
	.globl	_ZN2ck27kernel_gemm_xdl_cshuffle_v1INS_43GridwiseGemm_k0mk1_k0nk1_mn_xdl_cshuffle_v1INS_13tensor_layout4gemm8RowMajorENS3_11ColumnMajorES4_NS_9f8_fnuz_tES6_ffS6_NS_16tensor_operation12element_wise11PassThroughES9_S9_LNS7_6device18GemmSpecializationE0ELNS_25InMemoryDataOperationEnumE0ELi1ELi256ELi256ELi128ELi64ELi16ELi16ELi16ELi16ELi8ELi2ENS_8SequenceIJLi4ELi64ELi1EEEENSD_IJLi1ELi0ELi2EEEESF_Li2ELi16ELi16ELb0ELi1ESE_SF_SF_Li2ELi8ELi8ELb0ELi1ELi1ELi1ENSD_IJLi1ELi32ELi1ELi8EEEELi4ELNS_13LoopSchedulerE0ELNS_15PipelineVersionE0ES6_S6_EELb0EEEvNT_8ArgumentE
	.p2align	8
	.type	_ZN2ck27kernel_gemm_xdl_cshuffle_v1INS_43GridwiseGemm_k0mk1_k0nk1_mn_xdl_cshuffle_v1INS_13tensor_layout4gemm8RowMajorENS3_11ColumnMajorES4_NS_9f8_fnuz_tES6_ffS6_NS_16tensor_operation12element_wise11PassThroughES9_S9_LNS7_6device18GemmSpecializationE0ELNS_25InMemoryDataOperationEnumE0ELi1ELi256ELi256ELi128ELi64ELi16ELi16ELi16ELi16ELi8ELi2ENS_8SequenceIJLi4ELi64ELi1EEEENSD_IJLi1ELi0ELi2EEEESF_Li2ELi16ELi16ELb0ELi1ESE_SF_SF_Li2ELi8ELi8ELb0ELi1ELi1ELi1ENSD_IJLi1ELi32ELi1ELi8EEEELi4ELNS_13LoopSchedulerE0ELNS_15PipelineVersionE0ES6_S6_EELb0EEEvNT_8ArgumentE,@function
_ZN2ck27kernel_gemm_xdl_cshuffle_v1INS_43GridwiseGemm_k0mk1_k0nk1_mn_xdl_cshuffle_v1INS_13tensor_layout4gemm8RowMajorENS3_11ColumnMajorES4_NS_9f8_fnuz_tES6_ffS6_NS_16tensor_operation12element_wise11PassThroughES9_S9_LNS7_6device18GemmSpecializationE0ELNS_25InMemoryDataOperationEnumE0ELi1ELi256ELi256ELi128ELi64ELi16ELi16ELi16ELi16ELi8ELi2ENS_8SequenceIJLi4ELi64ELi1EEEENSD_IJLi1ELi0ELi2EEEESF_Li2ELi16ELi16ELb0ELi1ESE_SF_SF_Li2ELi8ELi8ELb0ELi1ELi1ELi1ENSD_IJLi1ELi32ELi1ELi8EEEELi4ELNS_13LoopSchedulerE0ELNS_15PipelineVersionE0ES6_S6_EELb0EEEvNT_8ArgumentE: ; @_ZN2ck27kernel_gemm_xdl_cshuffle_v1INS_43GridwiseGemm_k0mk1_k0nk1_mn_xdl_cshuffle_v1INS_13tensor_layout4gemm8RowMajorENS3_11ColumnMajorES4_NS_9f8_fnuz_tES6_ffS6_NS_16tensor_operation12element_wise11PassThroughES9_S9_LNS7_6device18GemmSpecializationE0ELNS_25InMemoryDataOperationEnumE0ELi1ELi256ELi256ELi128ELi64ELi16ELi16ELi16ELi16ELi8ELi2ENS_8SequenceIJLi4ELi64ELi1EEEENSD_IJLi1ELi0ELi2EEEESF_Li2ELi16ELi16ELb0ELi1ESE_SF_SF_Li2ELi8ELi8ELb0ELi1ELi1ELi1ENSD_IJLi1ELi32ELi1ELi8EEEELi4ELNS_13LoopSchedulerE0ELNS_15PipelineVersionE0ES6_S6_EELb0EEEvNT_8ArgumentE
; %bb.0:
	s_clause 0x1
	s_load_b128 s[8:11], s[0:1], 0x10
	s_load_b64 s[2:3], s[0:1], 0x20
	s_abs_i32 s13, ttmp9
	v_and_b32_e32 v25, 0xfc, v0
	v_and_b32_e32 v26, 3, v0
	v_lshrrev_b32_e32 v27, 1, v0
	s_mov_b32 s23, 0x31004000
	v_lshrrev_b32_e32 v94, 3, v0
	v_and_b32_e32 v29, 15, v0
	v_lshlrev_b32_e32 v30, 3, v0
	v_and_b32_e32 v28, 0x7e, v27
	v_mul_u32_u24_e32 v33, 0x810, v26
	v_and_b32_e32 v31, 16, v94
	v_and_b32_e32 v32, 2, v94
	v_lshlrev_b32_e32 v34, 4, v29
	v_lshlrev_b32_e32 v0, 1, v0
	v_and_b32_e32 v95, 56, v30
	v_or_b32_e32 v35, v31, v29
	v_mul_u32_u24_e32 v36, 0x1010, v32
	v_mov_b32_e32 v96, 0x80
	s_wait_kmcnt 0x0
	s_add_co_i32 s4, s8, 0xff
	s_add_co_i32 s5, s9, 0x7f
	s_ashr_i32 s6, s4, 31
	s_ashr_i32 s7, s5, 31
	s_lshr_b32 s6, s6, 24
	s_lshr_b32 s7, s7, 25
	s_add_co_i32 s4, s4, s6
	s_add_co_i32 s5, s5, s7
	s_ashr_i32 s4, s4, 8
	s_ashr_i32 s5, s5, 7
	s_add_co_i32 s15, s8, -1
	s_mul_i32 s6, s5, s4
	s_mov_b32 s20, s2
	s_abs_i32 s6, s6
	v_lshl_add_u32 v88, v35, 4, v36
	s_cvt_f32_u32 s7, s6
	s_sub_co_i32 s12, 0, s6
	v_and_b32_e32 v0, 0xc0, v0
	s_delay_alu instid0(SALU_CYCLE_1) | instskip(NEXT) | instid1(TRANS32_DEP_1)
	v_rcp_iflag_f32_e32 v1, s7
	v_readfirstlane_b32 s7, v1
	s_mul_f32 s7, s7, 0x4f7ffffe
	s_wait_alu 0xfffe
	s_delay_alu instid0(SALU_CYCLE_2) | instskip(SKIP_1) | instid1(SALU_CYCLE_2)
	s_cvt_u32_f32 s7, s7
	s_wait_alu 0xfffe
	s_mul_i32 s12, s12, s7
	s_delay_alu instid0(SALU_CYCLE_1) | instskip(NEXT) | instid1(SALU_CYCLE_1)
	s_mul_hi_u32 s12, s7, s12
	s_add_co_i32 s7, s7, s12
	s_ashr_i32 s12, ttmp9, 31
	s_wait_alu 0xfffe
	s_mul_hi_u32 s7, s13, s7
	s_wait_alu 0xfffe
	s_mul_i32 s7, s7, s6
	s_wait_alu 0xfffe
	s_sub_co_i32 s7, s13, s7
	s_add_co_i32 s13, s9, -1
	s_wait_alu 0xfffe
	s_sub_co_i32 s8, s7, s6
	s_cmp_ge_u32 s7, s6
	s_cselect_b32 s7, s8, s7
	s_wait_alu 0xfffe
	s_sub_co_i32 s8, s7, s6
	s_cmp_ge_u32 s7, s6
	s_cselect_b32 s6, s8, s7
	s_abs_i32 s7, s5
	s_wait_alu 0xfffe
	s_xor_b32 s6, s6, s12
	s_cvt_f32_u32 s8, s7
	s_sub_co_i32 s14, 0, s7
	s_wait_alu 0xfffe
	s_sub_co_i32 s6, s6, s12
	v_rcp_iflag_f32_e32 v1, s8
	s_delay_alu instid0(TRANS32_DEP_1) | instskip(SKIP_2) | instid1(SALU_CYCLE_2)
	v_readfirstlane_b32 s8, v1
	s_mul_f32 s8, s8, 0x4f7ffffe
	s_wait_alu 0xfffe
	s_cvt_u32_f32 s8, s8
	s_wait_alu 0xfffe
	s_delay_alu instid0(SALU_CYCLE_2) | instskip(NEXT) | instid1(SALU_CYCLE_1)
	s_mul_i32 s14, s14, s8
	s_mul_hi_u32 s12, s8, s14
	s_abs_i32 s14, s6
	s_add_co_i32 s8, s8, s12
	s_xor_b32 s12, s6, s5
	s_wait_alu 0xfffe
	s_mul_hi_u32 s8, s14, s8
	s_ashr_i32 s12, s12, 31
	s_wait_alu 0xfffe
	s_mul_i32 s16, s8, s7
	s_delay_alu instid0(SALU_CYCLE_1)
	s_sub_co_i32 s14, s14, s16
	s_add_co_i32 s16, s8, 1
	s_sub_co_i32 s17, s14, s7
	s_cmp_ge_u32 s14, s7
	s_cselect_b32 s8, s16, s8
	s_cselect_b32 s14, s17, s14
	s_wait_alu 0xfffe
	s_add_co_i32 s16, s8, 1
	s_cmp_ge_u32 s14, s7
	s_cselect_b32 s7, s16, s8
	s_lshr_b32 s8, s4, 29
	s_wait_alu 0xfffe
	s_xor_b32 s7, s7, s12
	s_add_co_i32 s8, s4, s8
	s_wait_alu 0xfffe
	s_sub_co_i32 s7, s7, s12
	s_and_b32 s8, s8, -8
	s_wait_alu 0xfffe
	s_mul_i32 s16, s7, s5
	s_sub_co_i32 s4, s4, s8
	s_cmp_ge_i32 s7, s8
	s_cselect_b32 s14, s4, 8
	s_ashr_i32 s12, s7, 31
	s_abs_i32 s4, s14
	s_lshr_b32 s12, s12, 29
	s_cvt_f32_u32 s8, s4
	s_add_co_i32 s12, s7, s12
	s_sub_co_i32 s6, s6, s16
	s_and_b32 s16, s12, -8
	s_wait_alu 0xfffe
	v_rcp_iflag_f32_e32 v1, s8
	s_sub_co_i32 s7, s7, s16
	s_sub_co_i32 s12, 0, s4
	s_wait_alu 0xfffe
	s_mul_i32 s5, s7, s5
	s_delay_alu instid0(SALU_CYCLE_1) | instskip(NEXT) | instid1(SALU_CYCLE_1)
	s_add_co_i32 s17, s5, s6
	s_abs_i32 s6, s17
	s_xor_b32 s7, s17, s14
	s_delay_alu instid0(TRANS32_DEP_1)
	v_readfirstlane_b32 s8, v1
	s_wait_alu 0xfffe
	s_ashr_i32 s18, s7, 31
	v_lshlrev_b32_e32 v1, 4, v26
	s_mul_f32 s8, s8, 0x4f7ffffe
	s_wait_alu 0xfffe
	s_delay_alu instid0(SALU_CYCLE_2) | instskip(SKIP_1) | instid1(SALU_CYCLE_2)
	s_cvt_u32_f32 s8, s8
	s_wait_alu 0xfffe
	s_mul_i32 s12, s12, s8
	s_delay_alu instid0(SALU_CYCLE_1)
	s_mul_hi_u32 s5, s8, s12
	s_mov_b32 s12, 0
	s_add_co_i32 s8, s8, s5
	s_mov_b32 s19, s12
	s_wait_alu 0xfffe
	s_mul_hi_u32 s5, s6, s8
	s_mov_b32 s21, s12
	s_mul_i32 s8, s5, s4
	s_add_co_i32 s7, s5, 1
	s_wait_alu 0xfffe
	s_sub_co_i32 s6, s6, s8
	s_mul_u64 s[24:25], s[12:13], s[20:21]
	s_wait_alu 0xfffe
	s_sub_co_i32 s8, s6, s4
	s_cmp_ge_u32 s6, s4
	s_mov_b32 s13, s10
	s_cselect_b32 s5, s7, s5
	s_wait_alu 0xfffe
	s_cselect_b32 s6, s8, s6
	s_add_co_i32 s7, s5, 1
	s_wait_alu 0xfffe
	s_cmp_ge_u32 s6, s4
	s_add_nc_u64 s[24:25], s[24:25], s[12:13]
	s_cselect_b32 s8, s7, s5
	s_load_b128 s[4:7], s[0:1], 0x48
	s_xor_b32 s8, s8, s18
	s_wait_alu 0xfffe
	s_sub_co_i32 s8, s8, s18
	s_mov_b32 s18, s11
	s_wait_alu 0xfffe
	s_mul_i32 s14, s8, s14
	s_delay_alu instid0(SALU_CYCLE_1)
	s_sub_co_i32 s17, s17, s14
	s_mov_b32 s14, 0
	s_add_co_i32 s16, s16, s17
	s_mul_u64 s[18:19], s[14:15], s[18:19]
	v_lshl_or_b32 v2, s16, 8, v25
	s_add_nc_u64 s[18:19], s[18:19], s[12:13]
	v_lshlrev_b32_e32 v25, 4, v25
	s_mov_b32 s22, s19
	s_delay_alu instid0(VALU_DEP_2) | instskip(SKIP_1) | instid1(VALU_DEP_3)
	v_mad_co_u64_u32 v[2:3], null, v2, s11, v[1:2]
	v_lshl_or_b32 v3, s8, 7, v28
	v_mad_u32_u24 v25, 0x1010, v26, v25
	s_wait_kmcnt 0x0
	s_mov_b32 s20, s4
	s_and_b32 s21, s5, 0xffff
	v_lshl_add_u32 v26, v28, 4, v33
	v_and_or_b32 v28, 0x300, v30, v34
	v_mad_co_u64_u32 v[17:18], null, v3, s2, v[1:2]
	v_add_nc_u32_e32 v5, s11, v2
	s_delay_alu instid0(VALU_DEP_4) | instskip(NEXT) | instid1(VALU_DEP_4)
	v_add_nc_u32_e32 v37, 0x4000, v26
	v_mad_u32_u24 v32, 0x810, v32, v28
	s_mov_b32 s4, exec_lo
	s_delay_alu instid0(VALU_DEP_3) | instskip(SKIP_1) | instid1(VALU_DEP_2)
	v_add_nc_u32_e32 v9, s11, v5
	v_add_nc_u32_e32 v23, s2, v17
	;; [unrolled: 1-line block ×3, first 2 shown]
	s_delay_alu instid0(VALU_DEP_2)
	v_add_nc_u32_e32 v18, 8, v23
	s_clause 0x3
	buffer_load_b128 v[1:4], v2, s[20:23], null offen
	buffer_load_b128 v[5:8], v5, s[20:23], null offen
	;; [unrolled: 1-line block ×4, first 2 shown]
	s_and_b32 s21, s7, 0xffff
	s_mov_b32 s20, s6
	s_mov_b32 s22, s25
	s_clause 0x2
	buffer_load_b64 v[21:22], v18, s[20:23], null offen
	buffer_load_b128 v[17:20], v17, s[20:23], null offen
	buffer_load_b64 v[23:24], v23, s[20:23], null offen
	s_wait_loadcnt 0x2
	v_and_b32_e32 v33, 0xff00, v22
	v_and_b32_e32 v22, 0xffff00ff, v22
	v_and_b32_e32 v34, 0xff, v21
	v_and_b32_e32 v21, 0xffffff00, v21
	s_delay_alu instid0(VALU_DEP_3) | instskip(NEXT) | instid1(VALU_DEP_2)
	v_or_b32_e32 v22, v22, v33
	v_or_b32_e32 v21, v21, v34
	ds_store_b128 v25, v[1:4]
	ds_store_b128 v25, v[5:8] offset:16
	ds_store_b128 v25, v[9:12] offset:32
	;; [unrolled: 1-line block ×3, first 2 shown]
	s_wait_loadcnt 0x1
	ds_store_b128 v26, v[17:20] offset:16432
	s_wait_loadcnt 0x0
	ds_store_2addr_b64 v37, v[23:24], v[21:22] offset0:8 offset1:9
	s_wait_dscnt 0x0
	s_barrier_signal -1
	s_barrier_wait -1
	ds_load_b128 v[84:87], v88
	ds_load_b128 v[16:19], v32 offset:16432
	v_and_or_b32 v1, v27, 8, v31
	ds_load_b128 v[80:83], v88 offset:4112
	ds_load_b128 v[8:11], v32 offset:18496
	v_lshlrev_b32_e32 v2, 2, v29
	v_lshlrev_b32_e32 v3, 2, v95
	ds_load_b128 v[28:31], v32 offset:17456
	ds_load_b128 v[76:79], v88 offset:512
	v_lshlrev_b32_e32 v1, 8, v1
	ds_load_b128 v[24:27], v32 offset:19520
	ds_load_b128 v[72:75], v88 offset:4624
	;; [unrolled: 1-line block ×8, first 2 shown]
	v_lshl_or_b32 v92, v94, 8, v3
	ds_load_b128 v[48:51], v88 offset:6160
	ds_load_b128 v[40:43], v88 offset:6672
	;; [unrolled: 1-line block ×4, first 2 shown]
	v_or3_b32 v93, v0, v1, v2
	ds_load_b128 v[32:35], v88 offset:7184
	ds_load_b128 v[12:15], v88 offset:7696
	s_wait_dscnt 0x0
	s_barrier_signal -1
	s_barrier_wait -1
	v_wmma_f32_16x16x16_fp8_fp8 v[0:7], v[84:85], v[16:17], 0
	s_delay_alu instid0(VALU_DEP_1) | instskip(NEXT) | instid1(VALU_DEP_1)
	v_wmma_f32_16x16x16_fp8_fp8 v[0:7], v[86:87], v[18:19], v[0:7]
	v_wmma_f32_16x16x16_fp8_fp8 v[0:7], v[80:81], v[8:9], v[0:7]
	s_delay_alu instid0(VALU_DEP_1)
	v_wmma_f32_16x16x16_fp8_fp8 v[0:7], v[82:83], v[10:11], v[0:7]
	ds_store_2addr_stride64_b32 v93, v0, v1 offset1:1
	ds_store_2addr_stride64_b32 v93, v2, v3 offset0:2 offset1:3
	ds_store_2addr_stride64_b32 v93, v4, v5 offset0:4 offset1:5
	;; [unrolled: 1-line block ×3, first 2 shown]
	s_wait_dscnt 0x0
	s_barrier_signal -1
	s_barrier_wait -1
	ds_load_b128 v[0:3], v92
	s_wait_dscnt 0x0
	v_dual_mov_b32 v4, 0 :: v_dual_and_b32 v5, 0x7f800000, v0
	s_delay_alu instid0(VALU_DEP_1)
	v_cmpx_ne_u32_e32 0x7f800000, v5
	s_cbranch_execz .LBB4_8
; %bb.1:
	s_mov_b32 s5, exec_lo
	v_cmpx_ne_u32_e32 0, v0
	s_cbranch_execz .LBB4_7
; %bb.2:
	v_bfe_u32 v4, v0, 23, 8
	s_delay_alu instid0(VALU_DEP_1) | instskip(SKIP_1) | instid1(VALU_DEP_2)
	v_sub_nc_u32_e32 v6, 0x78, v4
	v_cmp_gt_u32_e32 vcc_lo, 0x79, v4
	v_dual_cndmask_b32 v6, 0, v6 :: v_dual_and_b32 v5, 0x7fffff, v0
	s_delay_alu instid0(VALU_DEP_1) | instskip(SKIP_2) | instid1(VALU_DEP_2)
	v_or_b32_e32 v7, 0x800000, v5
	v_cmp_eq_u32_e32 vcc_lo, 0, v4
	s_wait_alu 0xfffd
	v_dual_cndmask_b32 v5, v7, v5 :: v_dual_add_nc_u32 v4, 0xffffff89, v4
	v_cndmask_b32_e64 v6, v6, 0x77, vcc_lo
	s_delay_alu instid0(VALU_DEP_2) | instskip(NEXT) | instid1(VALU_DEP_2)
	v_cndmask_b32_e64 v4, v4, 0xffffff8a, vcc_lo
	v_lshrrev_b32_e32 v88, v6, v5
	v_lshl_add_u32 v7, 0x100000, v6, -1
	v_lshlrev_b32_e64 v90, v6, 0x80000
	s_delay_alu instid0(VALU_DEP_4) | instskip(NEXT) | instid1(VALU_DEP_4)
	v_add_nc_u32_e32 v6, v6, v4
	v_bfe_u32 v89, v88, 20, 1
	s_delay_alu instid0(VALU_DEP_4) | instskip(NEXT) | instid1(VALU_DEP_2)
	v_and_b32_e32 v5, v7, v5
	v_add_nc_u32_e32 v7, -1, v89
	s_delay_alu instid0(VALU_DEP_2) | instskip(SKIP_1) | instid1(VALU_DEP_1)
	v_cmp_eq_u32_e64 s2, v5, v90
	s_wait_alu 0xf1ff
	v_cndmask_b32_e64 v5, 0, v7, s2
	v_lshrrev_b32_e32 v7, 23, v88
	s_mov_b32 s2, exec_lo
	s_delay_alu instid0(VALU_DEP_2) | instskip(NEXT) | instid1(VALU_DEP_2)
	v_add_nc_u32_e32 v5, v5, v88
	v_xor_b32_e32 v7, 1, v7
	s_delay_alu instid0(VALU_DEP_2) | instskip(NEXT) | instid1(VALU_DEP_1)
	v_and_b32_e32 v4, 0xfffff, v5
	v_add_nc_u32_e32 v5, v4, v88
                                        ; implicit-def: $vgpr4
	s_delay_alu instid0(VALU_DEP_3)
	v_cmpx_ne_u32_e64 v6, v7
	s_wait_alu 0xfffe
	s_xor_b32 s2, exec_lo, s2
; %bb.3:
	s_delay_alu instid0(VALU_DEP_2) | instskip(SKIP_3) | instid1(VALU_DEP_2)
	v_cmp_lt_u32_e32 vcc_lo, 0xffffff, v5
	v_sub_nc_u32_e32 v4, v6, v7
	s_wait_alu 0xfffd
	v_cndmask_b32_e64 v6, 0, 1, vcc_lo
	v_add_co_ci_u32_e64 v4, null, 0, v4, vcc_lo
	s_delay_alu instid0(VALU_DEP_2)
	v_lshrrev_b32_e32 v5, v6, v5
; %bb.4:
	s_wait_alu 0xfffe
	s_and_not1_saveexec_b32 s2, s2
; %bb.5:
	s_delay_alu instid0(VALU_DEP_1)
	v_bfe_u32 v4, v5, 23, 1
; %bb.6:
	s_wait_alu 0xfffe
	s_or_b32 exec_lo, exec_lo, s2
	v_lshrrev_b32_e32 v5, 20, v5
	s_delay_alu instid0(VALU_DEP_2) | instskip(SKIP_3) | instid1(VALU_DEP_2)
	v_cmp_gt_i32_e32 vcc_lo, 16, v4
	v_min_i32_e32 v6, 15, v4
	v_lshrrev_b32_e32 v0, 24, v0
	s_wait_alu 0xfffd
	v_dual_cndmask_b32 v5, 7, v5 :: v_dual_lshlrev_b32 v6, 3, v6
	s_delay_alu instid0(VALU_DEP_2) | instskip(NEXT) | instid1(VALU_DEP_2)
	v_and_b32_e32 v0, 0x80, v0
	v_or_b32_e32 v4, v4, v5
	s_delay_alu instid0(VALU_DEP_3) | instskip(NEXT) | instid1(VALU_DEP_2)
	v_and_b32_e32 v6, 0xf8, v6
	v_cmp_ne_u32_e32 vcc_lo, 0, v4
	v_and_b32_e32 v7, 7, v5
	s_delay_alu instid0(VALU_DEP_1) | instskip(SKIP_1) | instid1(VALU_DEP_1)
	v_or3_b32 v0, v6, v0, v7
	s_wait_alu 0xfffd
	v_cndmask_b32_e32 v4, 0, v0, vcc_lo
.LBB4_7:
	s_or_b32 exec_lo, exec_lo, s5
	s_delay_alu instid0(VALU_DEP_1)
	v_mov_b32_e32 v96, v4
.LBB4_8:
	s_or_b32 exec_lo, exec_lo, s4
	s_load_b64 s[4:5], s[0:1], 0x58
	v_and_b32_e32 v0, 0x7f800000, v1
	v_mov_b32_e32 v97, 0x8000
	s_mov_b32 s1, exec_lo
	s_delay_alu instid0(VALU_DEP_2)
	v_cmpx_ne_u32_e32 0x7f800000, v0
	s_cbranch_execz .LBB4_16
; %bb.9:
	v_mov_b32_e32 v97, 0
	s_mov_b32 s2, exec_lo
	v_cmpx_ne_u32_e32 0, v1
	s_cbranch_execz .LBB4_15
; %bb.10:
	v_bfe_u32 v0, v1, 23, 8
	v_and_b32_e32 v4, 0x7fffff, v1
	s_delay_alu instid0(VALU_DEP_2) | instskip(SKIP_1) | instid1(VALU_DEP_3)
	v_sub_nc_u32_e32 v5, 0x78, v0
	v_cmp_gt_u32_e32 vcc_lo, 0x79, v0
	v_or_b32_e32 v6, 0x800000, v4
	s_wait_alu 0xfffd
	s_delay_alu instid0(VALU_DEP_3)
	v_cndmask_b32_e32 v5, 0, v5, vcc_lo
	v_cmp_eq_u32_e32 vcc_lo, 0, v0
	v_add_nc_u32_e32 v0, 0xffffff89, v0
	s_wait_alu 0xfffd
	v_cndmask_b32_e32 v4, v6, v4, vcc_lo
	v_cndmask_b32_e64 v5, v5, 0x77, vcc_lo
	s_delay_alu instid0(VALU_DEP_3) | instskip(NEXT) | instid1(VALU_DEP_2)
	v_cndmask_b32_e64 v0, v0, 0xffffff8a, vcc_lo
	v_lshrrev_b32_e32 v7, v5, v4
	v_lshl_add_u32 v6, 0x100000, v5, -1
	v_lshlrev_b32_e64 v89, v5, 0x80000
	s_delay_alu instid0(VALU_DEP_4) | instskip(NEXT) | instid1(VALU_DEP_4)
	v_add_nc_u32_e32 v5, v5, v0
	v_bfe_u32 v88, v7, 20, 1
	s_delay_alu instid0(VALU_DEP_4) | instskip(NEXT) | instid1(VALU_DEP_2)
	v_and_b32_e32 v4, v6, v4
	v_add_nc_u32_e32 v6, -1, v88
	s_delay_alu instid0(VALU_DEP_2) | instskip(NEXT) | instid1(VALU_DEP_1)
	v_cmp_eq_u32_e64 s0, v4, v89
	v_cndmask_b32_e64 v4, 0, v6, s0
	v_lshrrev_b32_e32 v6, 23, v7
	s_mov_b32 s0, exec_lo
	s_delay_alu instid0(VALU_DEP_2) | instskip(NEXT) | instid1(VALU_DEP_2)
	v_add_nc_u32_e32 v4, v4, v7
	v_xor_b32_e32 v6, 1, v6
	s_delay_alu instid0(VALU_DEP_2) | instskip(NEXT) | instid1(VALU_DEP_1)
	v_and_b32_e32 v0, 0xfffff, v4
	v_add_nc_u32_e32 v4, v0, v7
                                        ; implicit-def: $vgpr0
	s_delay_alu instid0(VALU_DEP_3)
	v_cmpx_ne_u32_e64 v5, v6
	s_wait_alu 0xfffe
	s_xor_b32 s0, exec_lo, s0
; %bb.11:
	s_delay_alu instid0(VALU_DEP_2) | instskip(SKIP_3) | instid1(VALU_DEP_2)
	v_cmp_lt_u32_e32 vcc_lo, 0xffffff, v4
	v_sub_nc_u32_e32 v0, v5, v6
	s_wait_alu 0xfffd
	v_cndmask_b32_e64 v5, 0, 1, vcc_lo
	v_add_co_ci_u32_e64 v0, null, 0, v0, vcc_lo
	s_delay_alu instid0(VALU_DEP_2)
	v_lshrrev_b32_e32 v4, v5, v4
; %bb.12:
	s_wait_alu 0xfffe
	s_and_not1_saveexec_b32 s0, s0
; %bb.13:
	s_delay_alu instid0(VALU_DEP_1)
	v_bfe_u32 v0, v4, 23, 1
; %bb.14:
	s_wait_alu 0xfffe
	s_or_b32 exec_lo, exec_lo, s0
	v_lshrrev_b32_e32 v4, 20, v4
	s_delay_alu instid0(VALU_DEP_2) | instskip(SKIP_3) | instid1(VALU_DEP_2)
	v_cmp_gt_i32_e32 vcc_lo, 16, v0
	v_min_i32_e32 v5, 15, v0
	v_lshrrev_b32_e32 v1, 24, v1
	s_wait_alu 0xfffd
	v_dual_cndmask_b32 v4, 7, v4 :: v_dual_lshlrev_b32 v5, 3, v5
	s_delay_alu instid0(VALU_DEP_2) | instskip(NEXT) | instid1(VALU_DEP_2)
	v_and_b32_e32 v1, 0x80, v1
	v_or_b32_e32 v0, v0, v4
	s_delay_alu instid0(VALU_DEP_3) | instskip(NEXT) | instid1(VALU_DEP_2)
	v_and_b32_e32 v5, 0xf8, v5
	v_cmp_ne_u32_e32 vcc_lo, 0, v0
	v_and_b32_e32 v6, 7, v4
	s_delay_alu instid0(VALU_DEP_1) | instskip(NEXT) | instid1(VALU_DEP_1)
	v_or3_b32 v1, v1, v5, v6
	v_lshlrev_b32_e32 v1, 8, v1
	s_wait_alu 0xfffd
	s_delay_alu instid0(VALU_DEP_1)
	v_cndmask_b32_e32 v97, 0, v1, vcc_lo
.LBB4_15:
	s_wait_alu 0xfffe
	s_or_b32 exec_lo, exec_lo, s2
.LBB4_16:
	s_delay_alu instid0(SALU_CYCLE_1) | instskip(SKIP_3) | instid1(VALU_DEP_2)
	s_or_b32 exec_lo, exec_lo, s1
	v_and_b32_e32 v0, 0x7f800000, v2
	v_mov_b32_e32 v98, 0x800000
	s_mov_b32 s1, exec_lo
	v_cmpx_ne_u32_e32 0x7f800000, v0
	s_cbranch_execz .LBB4_24
; %bb.17:
	v_mov_b32_e32 v98, 0
	s_mov_b32 s2, exec_lo
	v_cmpx_ne_u32_e32 0, v2
	s_cbranch_execz .LBB4_23
; %bb.18:
	v_bfe_u32 v0, v2, 23, 8
	s_delay_alu instid0(VALU_DEP_1) | instskip(SKIP_2) | instid1(VALU_DEP_2)
	v_sub_nc_u32_e32 v4, 0x78, v0
	v_cmp_gt_u32_e32 vcc_lo, 0x79, v0
	s_wait_alu 0xfffd
	v_dual_cndmask_b32 v4, 0, v4 :: v_dual_and_b32 v1, 0x7fffff, v2
	s_delay_alu instid0(VALU_DEP_1) | instskip(SKIP_2) | instid1(VALU_DEP_2)
	v_or_b32_e32 v5, 0x800000, v1
	v_cmp_eq_u32_e32 vcc_lo, 0, v0
	s_wait_alu 0xfffd
	v_dual_cndmask_b32 v1, v5, v1 :: v_dual_add_nc_u32 v0, 0xffffff89, v0
	v_cndmask_b32_e64 v4, v4, 0x77, vcc_lo
	s_delay_alu instid0(VALU_DEP_2) | instskip(NEXT) | instid1(VALU_DEP_2)
	v_cndmask_b32_e64 v0, v0, 0xffffff8a, vcc_lo
	v_lshrrev_b32_e32 v6, v4, v1
	v_lshl_add_u32 v5, 0x100000, v4, -1
	v_lshlrev_b32_e64 v88, v4, 0x80000
	s_delay_alu instid0(VALU_DEP_4) | instskip(NEXT) | instid1(VALU_DEP_4)
	v_add_nc_u32_e32 v4, v4, v0
	v_bfe_u32 v7, v6, 20, 1
	s_delay_alu instid0(VALU_DEP_4) | instskip(NEXT) | instid1(VALU_DEP_2)
	v_and_b32_e32 v1, v5, v1
	v_add_nc_u32_e32 v5, -1, v7
	s_delay_alu instid0(VALU_DEP_2) | instskip(SKIP_1) | instid1(VALU_DEP_1)
	v_cmp_eq_u32_e64 s0, v1, v88
	s_wait_alu 0xf1ff
	v_cndmask_b32_e64 v1, 0, v5, s0
	v_lshrrev_b32_e32 v5, 23, v6
	s_mov_b32 s0, exec_lo
	s_delay_alu instid0(VALU_DEP_2) | instskip(NEXT) | instid1(VALU_DEP_2)
	v_add_nc_u32_e32 v1, v1, v6
	v_xor_b32_e32 v5, 1, v5
	s_delay_alu instid0(VALU_DEP_2) | instskip(NEXT) | instid1(VALU_DEP_1)
	v_and_b32_e32 v0, 0xfffff, v1
	v_add_nc_u32_e32 v1, v0, v6
                                        ; implicit-def: $vgpr0
	s_delay_alu instid0(VALU_DEP_3)
	v_cmpx_ne_u32_e64 v4, v5
	s_wait_alu 0xfffe
	s_xor_b32 s0, exec_lo, s0
; %bb.19:
	s_delay_alu instid0(VALU_DEP_2) | instskip(SKIP_3) | instid1(VALU_DEP_2)
	v_cmp_lt_u32_e32 vcc_lo, 0xffffff, v1
	v_sub_nc_u32_e32 v0, v4, v5
	s_wait_alu 0xfffd
	v_cndmask_b32_e64 v4, 0, 1, vcc_lo
	v_add_co_ci_u32_e64 v0, null, 0, v0, vcc_lo
	s_delay_alu instid0(VALU_DEP_2)
	v_lshrrev_b32_e32 v1, v4, v1
; %bb.20:
	s_wait_alu 0xfffe
	s_and_not1_saveexec_b32 s0, s0
; %bb.21:
	s_delay_alu instid0(VALU_DEP_1)
	v_bfe_u32 v0, v1, 23, 1
; %bb.22:
	s_wait_alu 0xfffe
	s_or_b32 exec_lo, exec_lo, s0
	v_lshrrev_b32_e32 v1, 20, v1
	s_delay_alu instid0(VALU_DEP_2) | instskip(SKIP_3) | instid1(VALU_DEP_3)
	v_min_i32_e32 v4, 15, v0
	v_cmp_gt_i32_e32 vcc_lo, 16, v0
	v_lshrrev_b32_e32 v2, 24, v2
	s_wait_alu 0xfffd
	v_dual_cndmask_b32 v1, 7, v1 :: v_dual_lshlrev_b32 v4, 3, v4
	s_delay_alu instid0(VALU_DEP_2) | instskip(NEXT) | instid1(VALU_DEP_2)
	v_and_b32_e32 v2, 0x80, v2
	v_and_b32_e32 v4, 0xf8, v4
	s_delay_alu instid0(VALU_DEP_3) | instskip(SKIP_1) | instid1(VALU_DEP_2)
	v_and_b32_e32 v5, 7, v1
	v_or_b32_e32 v0, v0, v1
	v_or3_b32 v2, v2, v4, v5
	s_delay_alu instid0(VALU_DEP_2) | instskip(NEXT) | instid1(VALU_DEP_2)
	v_cmp_ne_u32_e32 vcc_lo, 0, v0
	v_lshlrev_b32_e32 v1, 16, v2
	s_wait_alu 0xfffd
	s_delay_alu instid0(VALU_DEP_1)
	v_cndmask_b32_e32 v98, 0, v1, vcc_lo
.LBB4_23:
	s_wait_alu 0xfffe
	s_or_b32 exec_lo, exec_lo, s2
.LBB4_24:
	s_wait_alu 0xfffe
	s_or_b32 exec_lo, exec_lo, s1
	v_and_b32_e32 v0, 0x7f800000, v3
	v_bfrev_b32_e32 v99, 1
	s_mov_b32 s13, s9
	s_mov_b32 s1, exec_lo
	s_delay_alu instid0(VALU_DEP_2)
	v_cmpx_ne_u32_e32 0x7f800000, v0
	s_cbranch_execz .LBB4_32
; %bb.25:
	v_mov_b32_e32 v99, 0
	s_mov_b32 s2, exec_lo
	v_cmpx_ne_u32_e32 0, v3
	s_cbranch_execz .LBB4_31
; %bb.26:
	v_bfe_u32 v0, v3, 23, 8
	s_delay_alu instid0(VALU_DEP_1) | instskip(SKIP_2) | instid1(VALU_DEP_2)
	v_sub_nc_u32_e32 v2, 0x78, v0
	v_cmp_gt_u32_e32 vcc_lo, 0x79, v0
	s_wait_alu 0xfffd
	v_dual_cndmask_b32 v2, 0, v2 :: v_dual_and_b32 v1, 0x7fffff, v3
	s_delay_alu instid0(VALU_DEP_1)
	v_or_b32_e32 v4, 0x800000, v1
	v_cmp_eq_u32_e32 vcc_lo, 0, v0
	v_add_nc_u32_e32 v0, 0xffffff89, v0
	s_wait_alu 0xfffd
	v_cndmask_b32_e64 v2, v2, 0x77, vcc_lo
	v_cndmask_b32_e32 v1, v4, v1, vcc_lo
	s_delay_alu instid0(VALU_DEP_3) | instskip(NEXT) | instid1(VALU_DEP_3)
	v_cndmask_b32_e64 v0, v0, 0xffffff8a, vcc_lo
	v_lshl_add_u32 v4, 0x100000, v2, -1
	s_delay_alu instid0(VALU_DEP_3) | instskip(SKIP_1) | instid1(VALU_DEP_4)
	v_lshrrev_b32_e32 v5, v2, v1
	v_lshlrev_b32_e64 v7, v2, 0x80000
	v_add_nc_u32_e32 v2, v2, v0
	s_delay_alu instid0(VALU_DEP_4) | instskip(NEXT) | instid1(VALU_DEP_4)
	v_and_b32_e32 v1, v4, v1
	v_bfe_u32 v6, v5, 20, 1
	s_delay_alu instid0(VALU_DEP_2) | instskip(NEXT) | instid1(VALU_DEP_2)
	v_cmp_eq_u32_e64 s0, v1, v7
	v_add_nc_u32_e32 v4, -1, v6
	s_wait_alu 0xf1ff
	s_delay_alu instid0(VALU_DEP_1) | instskip(SKIP_2) | instid1(VALU_DEP_2)
	v_cndmask_b32_e64 v1, 0, v4, s0
	v_lshrrev_b32_e32 v4, 23, v5
	s_mov_b32 s0, exec_lo
	v_add_nc_u32_e32 v1, v1, v5
	s_delay_alu instid0(VALU_DEP_2) | instskip(NEXT) | instid1(VALU_DEP_2)
	v_xor_b32_e32 v4, 1, v4
	v_and_b32_e32 v0, 0xfffff, v1
	s_delay_alu instid0(VALU_DEP_1) | instskip(NEXT) | instid1(VALU_DEP_3)
	v_add_nc_u32_e32 v1, v0, v5
                                        ; implicit-def: $vgpr0
	v_cmpx_ne_u32_e64 v2, v4
	s_wait_alu 0xfffe
	s_xor_b32 s0, exec_lo, s0
; %bb.27:
	s_delay_alu instid0(VALU_DEP_2) | instskip(SKIP_3) | instid1(VALU_DEP_2)
	v_cmp_lt_u32_e32 vcc_lo, 0xffffff, v1
	v_sub_nc_u32_e32 v0, v2, v4
	s_wait_alu 0xfffd
	v_cndmask_b32_e64 v2, 0, 1, vcc_lo
	v_add_co_ci_u32_e64 v0, null, 0, v0, vcc_lo
	s_delay_alu instid0(VALU_DEP_2)
	v_lshrrev_b32_e32 v1, v2, v1
; %bb.28:
	s_wait_alu 0xfffe
	s_and_not1_saveexec_b32 s0, s0
; %bb.29:
	s_delay_alu instid0(VALU_DEP_1)
	v_bfe_u32 v0, v1, 23, 1
; %bb.30:
	s_wait_alu 0xfffe
	s_or_b32 exec_lo, exec_lo, s0
	v_lshrrev_b32_e32 v1, 20, v1
	s_delay_alu instid0(VALU_DEP_2) | instskip(SKIP_3) | instid1(VALU_DEP_2)
	v_cmp_gt_i32_e32 vcc_lo, 16, v0
	v_lshrrev_b32_e32 v2, 24, v3
	v_min_i32_e32 v3, 15, v0
	s_wait_alu 0xfffd
	v_dual_cndmask_b32 v1, 7, v1 :: v_dual_and_b32 v2, 0x80, v2
	s_delay_alu instid0(VALU_DEP_2) | instskip(NEXT) | instid1(VALU_DEP_2)
	v_lshlrev_b32_e32 v3, 3, v3
	v_and_b32_e32 v4, 7, v1
	v_or_b32_e32 v0, v0, v1
	s_delay_alu instid0(VALU_DEP_2) | instskip(NEXT) | instid1(VALU_DEP_2)
	v_or3_b32 v2, v2, v3, v4
	v_cmp_ne_u32_e32 vcc_lo, 0, v0
	s_delay_alu instid0(VALU_DEP_2) | instskip(SKIP_1) | instid1(VALU_DEP_1)
	v_lshlrev_b32_e32 v1, 24, v2
	s_wait_alu 0xfffd
	v_cndmask_b32_e32 v99, 0, v1, vcc_lo
.LBB4_31:
	s_wait_alu 0xfffe
	s_or_b32 exec_lo, exec_lo, s2
.LBB4_32:
	s_wait_alu 0xfffe
	s_or_b32 exec_lo, exec_lo, s1
	ds_load_b128 v[88:91], v92 offset:16
	v_wmma_f32_16x16x16_fp8_fp8 v[0:7], v[84:85], v[28:29], 0
	v_lshl_or_b32 v84, s8, 7, v95
	v_lshl_or_b32 v85, s16, 8, v94
	v_or_b32_e32 v94, v97, v96
	s_mov_b32 s1, 0
	s_mov_b32 s0, s3
	s_wait_kmcnt 0x0
	s_and_b32 s5, s5, 0xffff
	v_mad_co_u64_u32 v[84:85], null, v85, s3, v[84:85]
	s_wait_alu 0xfffe
	s_mul_u64 s[0:1], s[14:15], s[0:1]
	v_or3_b32 v94, v98, v94, v99
	v_mov_b32_e32 v85, 0x80
	s_wait_alu 0xfffe
	s_add_nc_u64 s[0:1], s[0:1], s[12:13]
	s_mov_b32 s7, 0x31004000
	s_wait_alu 0xfffe
	s_mov_b32 s6, s1
	s_mov_b32 s2, exec_lo
	buffer_store_b32 v94, v84, s[4:7], null offen
	s_wait_dscnt 0x0
	v_and_b32_e32 v95, 0x7f800000, v88
	s_delay_alu instid0(VALU_DEP_1)
	v_cmpx_ne_u32_e32 0x7f800000, v95
	s_cbranch_execz .LBB4_40
; %bb.33:
	v_mov_b32_e32 v85, 0
	s_mov_b32 s6, exec_lo
	v_cmpx_ne_u32_e32 0, v88
	s_cbranch_execz .LBB4_39
; %bb.34:
	v_bfe_u32 v85, v88, 23, 8
	s_delay_alu instid0(VALU_DEP_1) | instskip(SKIP_2) | instid1(VALU_DEP_2)
	v_sub_nc_u32_e32 v95, 0x78, v85
	v_cmp_gt_u32_e32 vcc_lo, 0x79, v85
	s_wait_alu 0xfffd
	v_dual_cndmask_b32 v95, 0, v95 :: v_dual_and_b32 v94, 0x7fffff, v88
	s_delay_alu instid0(VALU_DEP_1) | instskip(SKIP_2) | instid1(VALU_DEP_2)
	v_or_b32_e32 v96, 0x800000, v94
	v_cmp_eq_u32_e32 vcc_lo, 0, v85
	s_wait_alu 0xfffd
	v_dual_cndmask_b32 v94, v96, v94 :: v_dual_add_nc_u32 v85, 0xffffff89, v85
	v_cndmask_b32_e64 v95, v95, 0x77, vcc_lo
	s_delay_alu instid0(VALU_DEP_2) | instskip(NEXT) | instid1(VALU_DEP_2)
	v_cndmask_b32_e64 v85, v85, 0xffffff8a, vcc_lo
	v_lshrrev_b32_e32 v97, v95, v94
	v_lshl_add_u32 v96, 0x100000, v95, -1
	v_lshlrev_b32_e64 v99, v95, 0x80000
	s_delay_alu instid0(VALU_DEP_4) | instskip(NEXT) | instid1(VALU_DEP_4)
	v_add_nc_u32_e32 v95, v95, v85
	v_bfe_u32 v98, v97, 20, 1
	s_delay_alu instid0(VALU_DEP_4) | instskip(NEXT) | instid1(VALU_DEP_2)
	v_and_b32_e32 v94, v96, v94
	v_add_nc_u32_e32 v96, -1, v98
	s_delay_alu instid0(VALU_DEP_2) | instskip(SKIP_1) | instid1(VALU_DEP_1)
	v_cmp_eq_u32_e64 s0, v94, v99
	s_wait_alu 0xf1ff
	v_cndmask_b32_e64 v94, 0, v96, s0
	v_lshrrev_b32_e32 v96, 23, v97
	s_mov_b32 s0, exec_lo
	s_delay_alu instid0(VALU_DEP_2) | instskip(NEXT) | instid1(VALU_DEP_2)
	v_add_nc_u32_e32 v94, v94, v97
	v_xor_b32_e32 v96, 1, v96
	s_delay_alu instid0(VALU_DEP_2) | instskip(NEXT) | instid1(VALU_DEP_1)
	v_and_b32_e32 v85, 0xfffff, v94
	v_add_nc_u32_e32 v94, v85, v97
                                        ; implicit-def: $vgpr85
	s_delay_alu instid0(VALU_DEP_3)
	v_cmpx_ne_u32_e64 v95, v96
	s_wait_alu 0xfffe
	s_xor_b32 s0, exec_lo, s0
; %bb.35:
	s_delay_alu instid0(VALU_DEP_2) | instskip(SKIP_3) | instid1(VALU_DEP_2)
	v_cmp_lt_u32_e32 vcc_lo, 0xffffff, v94
	v_sub_nc_u32_e32 v85, v95, v96
	s_wait_alu 0xfffd
	v_cndmask_b32_e64 v95, 0, 1, vcc_lo
	v_add_co_ci_u32_e64 v85, null, 0, v85, vcc_lo
	s_delay_alu instid0(VALU_DEP_2)
	v_lshrrev_b32_e32 v94, v95, v94
; %bb.36:
	s_wait_alu 0xfffe
	s_and_not1_saveexec_b32 s0, s0
; %bb.37:
	s_delay_alu instid0(VALU_DEP_1)
	v_bfe_u32 v85, v94, 23, 1
; %bb.38:
	s_wait_alu 0xfffe
	s_or_b32 exec_lo, exec_lo, s0
	v_lshrrev_b32_e32 v94, 20, v94
	s_delay_alu instid0(VALU_DEP_2) | instskip(SKIP_3) | instid1(VALU_DEP_2)
	v_cmp_gt_i32_e32 vcc_lo, 16, v85
	v_min_i32_e32 v95, 15, v85
	v_lshrrev_b32_e32 v88, 24, v88
	s_wait_alu 0xfffd
	v_dual_cndmask_b32 v94, 7, v94 :: v_dual_lshlrev_b32 v95, 3, v95
	s_delay_alu instid0(VALU_DEP_2) | instskip(NEXT) | instid1(VALU_DEP_2)
	v_and_b32_e32 v88, 0x80, v88
	v_or_b32_e32 v85, v85, v94
	s_delay_alu instid0(VALU_DEP_3) | instskip(NEXT) | instid1(VALU_DEP_2)
	v_and_b32_e32 v95, 0xf8, v95
	v_cmp_ne_u32_e32 vcc_lo, 0, v85
	v_and_b32_e32 v96, 7, v94
	s_delay_alu instid0(VALU_DEP_1) | instskip(SKIP_1) | instid1(VALU_DEP_1)
	v_or3_b32 v88, v95, v88, v96
	s_wait_alu 0xfffd
	v_cndmask_b32_e32 v85, 0, v88, vcc_lo
.LBB4_39:
	s_wait_alu 0xfffe
	s_or_b32 exec_lo, exec_lo, s6
.LBB4_40:
	s_delay_alu instid0(SALU_CYCLE_1) | instskip(SKIP_4) | instid1(VALU_DEP_3)
	s_or_b32 exec_lo, exec_lo, s2
	v_and_b32_e32 v88, 0x7f800000, v89
	v_wmma_f32_16x16x16_fp8_fp8 v[0:7], v[86:87], v[30:31], v[0:7]
	v_mov_b32_e32 v86, 0x8000
	s_mov_b32 s2, exec_lo
	v_cmpx_ne_u32_e32 0x7f800000, v88
	s_cbranch_execz .LBB4_48
; %bb.41:
	v_mov_b32_e32 v86, 0
	s_mov_b32 s6, exec_lo
	v_cmpx_ne_u32_e32 0, v89
	s_cbranch_execz .LBB4_47
; %bb.42:
	v_bfe_u32 v86, v89, 23, 8
	s_delay_alu instid0(VALU_DEP_1) | instskip(SKIP_2) | instid1(VALU_DEP_2)
	v_sub_nc_u32_e32 v88, 0x78, v86
	v_cmp_gt_u32_e32 vcc_lo, 0x79, v86
	s_wait_alu 0xfffd
	v_dual_cndmask_b32 v88, 0, v88 :: v_dual_and_b32 v87, 0x7fffff, v89
	s_delay_alu instid0(VALU_DEP_1)
	v_or_b32_e32 v94, 0x800000, v87
	v_cmp_eq_u32_e32 vcc_lo, 0, v86
	v_add_nc_u32_e32 v86, 0xffffff89, v86
	s_wait_alu 0xfffd
	v_cndmask_b32_e64 v88, v88, 0x77, vcc_lo
	v_cndmask_b32_e32 v87, v94, v87, vcc_lo
	s_delay_alu instid0(VALU_DEP_3) | instskip(NEXT) | instid1(VALU_DEP_3)
	v_cndmask_b32_e64 v86, v86, 0xffffff8a, vcc_lo
	v_lshl_add_u32 v94, 0x100000, v88, -1
	s_delay_alu instid0(VALU_DEP_3) | instskip(SKIP_1) | instid1(VALU_DEP_4)
	v_lshrrev_b32_e32 v95, v88, v87
	v_lshlrev_b32_e64 v97, v88, 0x80000
	v_add_nc_u32_e32 v88, v88, v86
	s_delay_alu instid0(VALU_DEP_4) | instskip(NEXT) | instid1(VALU_DEP_4)
	v_and_b32_e32 v87, v94, v87
	v_bfe_u32 v96, v95, 20, 1
	s_delay_alu instid0(VALU_DEP_2) | instskip(NEXT) | instid1(VALU_DEP_2)
	v_cmp_eq_u32_e64 s0, v87, v97
	v_add_nc_u32_e32 v94, -1, v96
	s_wait_alu 0xf1ff
	s_delay_alu instid0(VALU_DEP_1) | instskip(SKIP_2) | instid1(VALU_DEP_2)
	v_cndmask_b32_e64 v87, 0, v94, s0
	v_lshrrev_b32_e32 v94, 23, v95
	s_mov_b32 s0, exec_lo
	v_add_nc_u32_e32 v87, v87, v95
	s_delay_alu instid0(VALU_DEP_2) | instskip(NEXT) | instid1(VALU_DEP_2)
	v_xor_b32_e32 v94, 1, v94
	v_and_b32_e32 v86, 0xfffff, v87
	s_delay_alu instid0(VALU_DEP_1) | instskip(NEXT) | instid1(VALU_DEP_3)
	v_add_nc_u32_e32 v87, v86, v95
                                        ; implicit-def: $vgpr86
	v_cmpx_ne_u32_e64 v88, v94
	s_wait_alu 0xfffe
	s_xor_b32 s0, exec_lo, s0
; %bb.43:
	s_delay_alu instid0(VALU_DEP_2) | instskip(SKIP_3) | instid1(VALU_DEP_2)
	v_cmp_lt_u32_e32 vcc_lo, 0xffffff, v87
	v_sub_nc_u32_e32 v86, v88, v94
	s_wait_alu 0xfffd
	v_cndmask_b32_e64 v88, 0, 1, vcc_lo
	v_add_co_ci_u32_e64 v86, null, 0, v86, vcc_lo
	s_delay_alu instid0(VALU_DEP_2)
	v_lshrrev_b32_e32 v87, v88, v87
; %bb.44:
	s_wait_alu 0xfffe
	s_and_not1_saveexec_b32 s0, s0
; %bb.45:
	s_delay_alu instid0(VALU_DEP_1)
	v_bfe_u32 v86, v87, 23, 1
; %bb.46:
	s_wait_alu 0xfffe
	s_or_b32 exec_lo, exec_lo, s0
	v_lshrrev_b32_e32 v87, 20, v87
	s_delay_alu instid0(VALU_DEP_2) | instskip(SKIP_3) | instid1(VALU_DEP_2)
	v_cmp_gt_i32_e32 vcc_lo, 16, v86
	v_min_i32_e32 v88, 15, v86
	v_lshrrev_b32_e32 v89, 24, v89
	s_wait_alu 0xfffd
	v_dual_cndmask_b32 v87, 7, v87 :: v_dual_lshlrev_b32 v88, 3, v88
	s_delay_alu instid0(VALU_DEP_1) | instskip(SKIP_1) | instid1(VALU_DEP_3)
	v_or_b32_e32 v86, v86, v87
	v_and_b32_e32 v94, 7, v87
	v_and_b32_e32 v88, 0xf8, v88
	s_delay_alu instid0(VALU_DEP_3) | instskip(SKIP_1) | instid1(VALU_DEP_1)
	v_cmp_ne_u32_e32 vcc_lo, 0, v86
	v_and_b32_e32 v89, 0x80, v89
	v_or3_b32 v88, v89, v88, v94
	s_delay_alu instid0(VALU_DEP_1) | instskip(SKIP_1) | instid1(VALU_DEP_1)
	v_lshlrev_b32_e32 v87, 8, v88
	s_wait_alu 0xfffd
	v_cndmask_b32_e32 v86, 0, v87, vcc_lo
.LBB4_47:
	s_wait_alu 0xfffe
	s_or_b32 exec_lo, exec_lo, s6
.LBB4_48:
	s_wait_alu 0xfffe
	s_or_b32 exec_lo, exec_lo, s2
	v_and_b32_e32 v87, 0x7f800000, v90
	v_wmma_f32_16x16x16_fp8_fp8 v[0:7], v[80:81], v[24:25], v[0:7]
	v_mov_b32_e32 v80, 0x800000
	s_mov_b32 s2, exec_lo
	s_delay_alu instid0(VALU_DEP_3)
	v_cmpx_ne_u32_e32 0x7f800000, v87
	s_cbranch_execz .LBB4_56
; %bb.49:
	v_mov_b32_e32 v80, 0
	s_mov_b32 s6, exec_lo
	v_cmpx_ne_u32_e32 0, v90
	s_cbranch_execz .LBB4_55
; %bb.50:
	v_bfe_u32 v80, v90, 23, 8
	v_and_b32_e32 v81, 0x7fffff, v90
	s_delay_alu instid0(VALU_DEP_2) | instskip(SKIP_1) | instid1(VALU_DEP_3)
	v_sub_nc_u32_e32 v87, 0x78, v80
	v_cmp_gt_u32_e32 vcc_lo, 0x79, v80
	v_or_b32_e32 v88, 0x800000, v81
	s_wait_alu 0xfffd
	s_delay_alu instid0(VALU_DEP_3) | instskip(SKIP_3) | instid1(VALU_DEP_3)
	v_cndmask_b32_e32 v87, 0, v87, vcc_lo
	v_cmp_eq_u32_e32 vcc_lo, 0, v80
	s_wait_alu 0xfffd
	v_dual_cndmask_b32 v81, v88, v81 :: v_dual_add_nc_u32 v80, 0xffffff89, v80
	v_cndmask_b32_e64 v87, v87, 0x77, vcc_lo
	s_delay_alu instid0(VALU_DEP_2) | instskip(NEXT) | instid1(VALU_DEP_2)
	v_cndmask_b32_e64 v80, v80, 0xffffff8a, vcc_lo
	v_lshrrev_b32_e32 v89, v87, v81
	v_lshl_add_u32 v88, 0x100000, v87, -1
	v_lshlrev_b32_e64 v95, v87, 0x80000
	s_delay_alu instid0(VALU_DEP_4) | instskip(NEXT) | instid1(VALU_DEP_4)
	v_add_nc_u32_e32 v87, v87, v80
	v_bfe_u32 v94, v89, 20, 1
	s_delay_alu instid0(VALU_DEP_4) | instskip(NEXT) | instid1(VALU_DEP_2)
	v_and_b32_e32 v81, v88, v81
	v_add_nc_u32_e32 v88, -1, v94
	s_delay_alu instid0(VALU_DEP_2) | instskip(SKIP_1) | instid1(VALU_DEP_1)
	v_cmp_eq_u32_e64 s0, v81, v95
	s_wait_alu 0xf1ff
	v_cndmask_b32_e64 v81, 0, v88, s0
	v_lshrrev_b32_e32 v88, 23, v89
	s_mov_b32 s0, exec_lo
	s_delay_alu instid0(VALU_DEP_2) | instskip(NEXT) | instid1(VALU_DEP_2)
	v_add_nc_u32_e32 v81, v81, v89
	v_xor_b32_e32 v88, 1, v88
	s_delay_alu instid0(VALU_DEP_2) | instskip(NEXT) | instid1(VALU_DEP_1)
	v_and_b32_e32 v80, 0xfffff, v81
	v_add_nc_u32_e32 v81, v80, v89
                                        ; implicit-def: $vgpr80
	s_delay_alu instid0(VALU_DEP_3)
	v_cmpx_ne_u32_e64 v87, v88
	s_wait_alu 0xfffe
	s_xor_b32 s0, exec_lo, s0
; %bb.51:
	s_delay_alu instid0(VALU_DEP_2) | instskip(SKIP_3) | instid1(VALU_DEP_2)
	v_cmp_lt_u32_e32 vcc_lo, 0xffffff, v81
	v_sub_nc_u32_e32 v80, v87, v88
	s_wait_alu 0xfffd
	v_cndmask_b32_e64 v87, 0, 1, vcc_lo
	v_add_co_ci_u32_e64 v80, null, 0, v80, vcc_lo
	s_delay_alu instid0(VALU_DEP_2)
	v_lshrrev_b32_e32 v81, v87, v81
; %bb.52:
	s_wait_alu 0xfffe
	s_and_not1_saveexec_b32 s0, s0
; %bb.53:
	s_delay_alu instid0(VALU_DEP_1)
	v_bfe_u32 v80, v81, 23, 1
; %bb.54:
	s_wait_alu 0xfffe
	s_or_b32 exec_lo, exec_lo, s0
	v_lshrrev_b32_e32 v81, 20, v81
	s_delay_alu instid0(VALU_DEP_2) | instskip(SKIP_3) | instid1(VALU_DEP_2)
	v_cmp_gt_i32_e32 vcc_lo, 16, v80
	v_lshrrev_b32_e32 v88, 24, v90
	v_min_i32_e32 v87, 15, v80
	s_wait_alu 0xfffd
	v_dual_cndmask_b32 v81, 7, v81 :: v_dual_and_b32 v88, 0x80, v88
	s_delay_alu instid0(VALU_DEP_1) | instskip(SKIP_1) | instid1(VALU_DEP_2)
	v_or_b32_e32 v80, v80, v81
	v_and_b32_e32 v89, 7, v81
	v_cmp_ne_u32_e32 vcc_lo, 0, v80
	v_lshlrev_b32_e32 v87, 3, v87
	s_delay_alu instid0(VALU_DEP_1) | instskip(NEXT) | instid1(VALU_DEP_1)
	v_and_b32_e32 v87, 0xf8, v87
	v_or3_b32 v87, v88, v87, v89
	s_delay_alu instid0(VALU_DEP_1) | instskip(SKIP_1) | instid1(VALU_DEP_1)
	v_lshlrev_b32_e32 v81, 16, v87
	s_wait_alu 0xfffd
	v_cndmask_b32_e32 v80, 0, v81, vcc_lo
.LBB4_55:
	s_wait_alu 0xfffe
	s_or_b32 exec_lo, exec_lo, s6
.LBB4_56:
	s_wait_alu 0xfffe
	s_or_b32 exec_lo, exec_lo, s2
	v_and_b32_e32 v81, 0x7f800000, v91
	v_wmma_f32_16x16x16_fp8_fp8 v[0:7], v[82:83], v[26:27], v[0:7]
	s_delay_alu instid0(VALU_DEP_2)
	v_cmp_ne_u32_e32 vcc_lo, 0x7f800000, v81
	v_bfrev_b32_e32 v81, 1
	s_and_saveexec_b32 s2, vcc_lo
	s_cbranch_execz .LBB4_64
; %bb.57:
	v_mov_b32_e32 v81, 0
	s_mov_b32 s6, exec_lo
	v_cmpx_ne_u32_e32 0, v91
	s_cbranch_execz .LBB4_63
; %bb.58:
	v_bfe_u32 v81, v91, 23, 8
	v_and_b32_e32 v82, 0x7fffff, v91
	s_delay_alu instid0(VALU_DEP_2) | instskip(SKIP_1) | instid1(VALU_DEP_3)
	v_sub_nc_u32_e32 v83, 0x78, v81
	v_cmp_gt_u32_e32 vcc_lo, 0x79, v81
	v_or_b32_e32 v87, 0x800000, v82
	s_wait_alu 0xfffd
	s_delay_alu instid0(VALU_DEP_3) | instskip(SKIP_3) | instid1(VALU_DEP_3)
	v_cndmask_b32_e32 v83, 0, v83, vcc_lo
	v_cmp_eq_u32_e32 vcc_lo, 0, v81
	s_wait_alu 0xfffd
	v_dual_cndmask_b32 v82, v87, v82 :: v_dual_add_nc_u32 v81, 0xffffff89, v81
	v_cndmask_b32_e64 v83, v83, 0x77, vcc_lo
	s_delay_alu instid0(VALU_DEP_2) | instskip(NEXT) | instid1(VALU_DEP_2)
	v_cndmask_b32_e64 v81, v81, 0xffffff8a, vcc_lo
	v_lshrrev_b32_e32 v88, v83, v82
	v_lshl_add_u32 v87, 0x100000, v83, -1
	v_lshlrev_b32_e64 v90, v83, 0x80000
	s_delay_alu instid0(VALU_DEP_4) | instskip(NEXT) | instid1(VALU_DEP_4)
	v_add_nc_u32_e32 v83, v83, v81
	v_bfe_u32 v89, v88, 20, 1
	s_delay_alu instid0(VALU_DEP_4) | instskip(NEXT) | instid1(VALU_DEP_2)
	v_and_b32_e32 v82, v87, v82
	v_add_nc_u32_e32 v87, -1, v89
	s_delay_alu instid0(VALU_DEP_2) | instskip(SKIP_1) | instid1(VALU_DEP_1)
	v_cmp_eq_u32_e64 s0, v82, v90
	s_wait_alu 0xf1ff
	v_cndmask_b32_e64 v82, 0, v87, s0
	v_lshrrev_b32_e32 v87, 23, v88
	s_mov_b32 s0, exec_lo
	s_delay_alu instid0(VALU_DEP_2) | instskip(NEXT) | instid1(VALU_DEP_2)
	v_add_nc_u32_e32 v82, v82, v88
	v_xor_b32_e32 v87, 1, v87
	s_delay_alu instid0(VALU_DEP_2) | instskip(NEXT) | instid1(VALU_DEP_1)
	v_and_b32_e32 v81, 0xfffff, v82
	v_add_nc_u32_e32 v82, v81, v88
                                        ; implicit-def: $vgpr81
	s_delay_alu instid0(VALU_DEP_3)
	v_cmpx_ne_u32_e64 v83, v87
	s_wait_alu 0xfffe
	s_xor_b32 s0, exec_lo, s0
; %bb.59:
	s_delay_alu instid0(VALU_DEP_2) | instskip(SKIP_3) | instid1(VALU_DEP_2)
	v_cmp_lt_u32_e32 vcc_lo, 0xffffff, v82
	v_sub_nc_u32_e32 v81, v83, v87
	s_wait_alu 0xfffd
	v_cndmask_b32_e64 v83, 0, 1, vcc_lo
	v_add_co_ci_u32_e64 v81, null, 0, v81, vcc_lo
	s_delay_alu instid0(VALU_DEP_2)
	v_lshrrev_b32_e32 v82, v83, v82
; %bb.60:
	s_wait_alu 0xfffe
	s_and_not1_saveexec_b32 s0, s0
; %bb.61:
	s_delay_alu instid0(VALU_DEP_1)
	v_bfe_u32 v81, v82, 23, 1
; %bb.62:
	s_wait_alu 0xfffe
	s_or_b32 exec_lo, exec_lo, s0
	v_lshrrev_b32_e32 v82, 20, v82
	s_delay_alu instid0(VALU_DEP_2) | instskip(SKIP_3) | instid1(VALU_DEP_2)
	v_cmp_gt_i32_e32 vcc_lo, 16, v81
	v_lshrrev_b32_e32 v83, 24, v91
	v_min_i32_e32 v87, 15, v81
	s_wait_alu 0xfffd
	v_dual_cndmask_b32 v82, 7, v82 :: v_dual_and_b32 v83, 0x80, v83
	s_delay_alu instid0(VALU_DEP_2) | instskip(NEXT) | instid1(VALU_DEP_2)
	v_lshlrev_b32_e32 v87, 3, v87
	v_and_b32_e32 v88, 7, v82
	v_or_b32_e32 v81, v81, v82
	s_delay_alu instid0(VALU_DEP_2) | instskip(NEXT) | instid1(VALU_DEP_2)
	v_or3_b32 v83, v83, v87, v88
	v_cmp_ne_u32_e32 vcc_lo, 0, v81
	s_delay_alu instid0(VALU_DEP_2) | instskip(SKIP_1) | instid1(VALU_DEP_1)
	v_lshlrev_b32_e32 v82, 24, v83
	s_wait_alu 0xfffd
	v_cndmask_b32_e32 v81, 0, v82, vcc_lo
.LBB4_63:
	s_wait_alu 0xfffe
	s_or_b32 exec_lo, exec_lo, s6
.LBB4_64:
	s_wait_alu 0xfffe
	s_or_b32 exec_lo, exec_lo, s2
	v_or_b32_e32 v82, v86, v85
	s_mov_b32 s6, s1
	s_delay_alu instid0(VALU_DEP_1)
	v_or3_b32 v80, v80, v82, v81
	buffer_store_b32 v80, v84, s[4:7], null offen offset:4
	s_wait_dscnt 0x0
	s_barrier_signal -1
	s_barrier_wait -1
	ds_store_2addr_stride64_b32 v93, v0, v1 offset1:1
	ds_store_2addr_stride64_b32 v93, v2, v3 offset0:2 offset1:3
	ds_store_2addr_stride64_b32 v93, v4, v5 offset0:4 offset1:5
	;; [unrolled: 1-line block ×3, first 2 shown]
	s_wait_dscnt 0x0
	s_barrier_signal -1
	s_barrier_wait -1
	ds_load_b128 v[0:3], v92
	s_wait_dscnt 0x0
	v_and_b32_e32 v4, 0x7f800000, v0
	s_delay_alu instid0(VALU_DEP_1)
	v_cmp_ne_u32_e32 vcc_lo, 0x7f800000, v4
	v_mov_b32_e32 v4, 0x80
	s_and_saveexec_b32 s2, vcc_lo
	s_cbranch_execz .LBB4_72
; %bb.65:
	v_mov_b32_e32 v4, 0
	s_mov_b32 s6, exec_lo
	v_cmpx_ne_u32_e32 0, v0
	s_cbranch_execz .LBB4_71
; %bb.66:
	v_bfe_u32 v4, v0, 23, 8
	s_delay_alu instid0(VALU_DEP_1) | instskip(SKIP_2) | instid1(VALU_DEP_2)
	v_sub_nc_u32_e32 v6, 0x78, v4
	v_cmp_gt_u32_e32 vcc_lo, 0x79, v4
	s_wait_alu 0xfffd
	v_dual_cndmask_b32 v6, 0, v6 :: v_dual_and_b32 v5, 0x7fffff, v0
	s_delay_alu instid0(VALU_DEP_1) | instskip(SKIP_2) | instid1(VALU_DEP_2)
	v_or_b32_e32 v7, 0x800000, v5
	v_cmp_eq_u32_e32 vcc_lo, 0, v4
	s_wait_alu 0xfffd
	v_dual_cndmask_b32 v5, v7, v5 :: v_dual_add_nc_u32 v4, 0xffffff89, v4
	v_cndmask_b32_e64 v6, v6, 0x77, vcc_lo
	s_delay_alu instid0(VALU_DEP_2) | instskip(NEXT) | instid1(VALU_DEP_2)
	v_cndmask_b32_e64 v4, v4, 0xffffff8a, vcc_lo
	v_lshrrev_b32_e32 v80, v6, v5
	v_lshl_add_u32 v7, 0x100000, v6, -1
	v_lshlrev_b32_e64 v82, v6, 0x80000
	s_delay_alu instid0(VALU_DEP_4) | instskip(NEXT) | instid1(VALU_DEP_4)
	v_add_nc_u32_e32 v6, v6, v4
	v_bfe_u32 v81, v80, 20, 1
	s_delay_alu instid0(VALU_DEP_4) | instskip(NEXT) | instid1(VALU_DEP_2)
	v_and_b32_e32 v5, v7, v5
	v_add_nc_u32_e32 v7, -1, v81
	s_delay_alu instid0(VALU_DEP_2) | instskip(SKIP_1) | instid1(VALU_DEP_1)
	v_cmp_eq_u32_e64 s0, v5, v82
	s_wait_alu 0xf1ff
	v_cndmask_b32_e64 v5, 0, v7, s0
	v_lshrrev_b32_e32 v7, 23, v80
	s_mov_b32 s0, exec_lo
	s_delay_alu instid0(VALU_DEP_2) | instskip(NEXT) | instid1(VALU_DEP_2)
	v_add_nc_u32_e32 v5, v5, v80
	v_xor_b32_e32 v7, 1, v7
	s_delay_alu instid0(VALU_DEP_2) | instskip(NEXT) | instid1(VALU_DEP_1)
	v_and_b32_e32 v4, 0xfffff, v5
	v_add_nc_u32_e32 v5, v4, v80
                                        ; implicit-def: $vgpr4
	s_delay_alu instid0(VALU_DEP_3)
	v_cmpx_ne_u32_e64 v6, v7
	s_wait_alu 0xfffe
	s_xor_b32 s0, exec_lo, s0
; %bb.67:
	s_delay_alu instid0(VALU_DEP_2) | instskip(SKIP_3) | instid1(VALU_DEP_2)
	v_cmp_lt_u32_e32 vcc_lo, 0xffffff, v5
	v_sub_nc_u32_e32 v4, v6, v7
	s_wait_alu 0xfffd
	v_cndmask_b32_e64 v6, 0, 1, vcc_lo
	v_add_co_ci_u32_e64 v4, null, 0, v4, vcc_lo
	s_delay_alu instid0(VALU_DEP_2)
	v_lshrrev_b32_e32 v5, v6, v5
; %bb.68:
	s_wait_alu 0xfffe
	s_and_not1_saveexec_b32 s0, s0
; %bb.69:
	s_delay_alu instid0(VALU_DEP_1)
	v_bfe_u32 v4, v5, 23, 1
; %bb.70:
	s_wait_alu 0xfffe
	s_or_b32 exec_lo, exec_lo, s0
	v_lshrrev_b32_e32 v5, 20, v5
	s_delay_alu instid0(VALU_DEP_2) | instskip(SKIP_3) | instid1(VALU_DEP_2)
	v_cmp_gt_i32_e32 vcc_lo, 16, v4
	v_min_i32_e32 v6, 15, v4
	v_lshrrev_b32_e32 v0, 24, v0
	s_wait_alu 0xfffd
	v_dual_cndmask_b32 v5, 7, v5 :: v_dual_lshlrev_b32 v6, 3, v6
	s_delay_alu instid0(VALU_DEP_2) | instskip(NEXT) | instid1(VALU_DEP_2)
	v_and_b32_e32 v0, 0x80, v0
	v_or_b32_e32 v4, v4, v5
	s_delay_alu instid0(VALU_DEP_3) | instskip(NEXT) | instid1(VALU_DEP_2)
	v_and_b32_e32 v6, 0xf8, v6
	v_cmp_ne_u32_e32 vcc_lo, 0, v4
	v_and_b32_e32 v7, 7, v5
	s_delay_alu instid0(VALU_DEP_1) | instskip(SKIP_1) | instid1(VALU_DEP_1)
	v_or3_b32 v0, v6, v0, v7
	s_wait_alu 0xfffd
	v_cndmask_b32_e32 v4, 0, v0, vcc_lo
.LBB4_71:
	s_wait_alu 0xfffe
	s_or_b32 exec_lo, exec_lo, s6
.LBB4_72:
	s_wait_alu 0xfffe
	s_or_b32 exec_lo, exec_lo, s2
	v_and_b32_e32 v0, 0x7f800000, v1
	s_delay_alu instid0(VALU_DEP_1)
	v_cmp_ne_u32_e32 vcc_lo, 0x7f800000, v0
	v_mov_b32_e32 v0, 0x8000
	s_and_saveexec_b32 s2, vcc_lo
	s_cbranch_execz .LBB4_80
; %bb.73:
	v_mov_b32_e32 v0, 0
	s_mov_b32 s6, exec_lo
	v_cmpx_ne_u32_e32 0, v1
	s_cbranch_execz .LBB4_79
; %bb.74:
	v_bfe_u32 v0, v1, 23, 8
	s_delay_alu instid0(VALU_DEP_1) | instskip(SKIP_2) | instid1(VALU_DEP_2)
	v_sub_nc_u32_e32 v6, 0x78, v0
	v_cmp_gt_u32_e32 vcc_lo, 0x79, v0
	s_wait_alu 0xfffd
	v_dual_cndmask_b32 v6, 0, v6 :: v_dual_and_b32 v5, 0x7fffff, v1
	s_delay_alu instid0(VALU_DEP_1) | instskip(SKIP_2) | instid1(VALU_DEP_2)
	v_or_b32_e32 v7, 0x800000, v5
	v_cmp_eq_u32_e32 vcc_lo, 0, v0
	s_wait_alu 0xfffd
	v_dual_cndmask_b32 v5, v7, v5 :: v_dual_add_nc_u32 v0, 0xffffff89, v0
	v_cndmask_b32_e64 v6, v6, 0x77, vcc_lo
	s_delay_alu instid0(VALU_DEP_2) | instskip(NEXT) | instid1(VALU_DEP_2)
	v_cndmask_b32_e64 v0, v0, 0xffffff8a, vcc_lo
	v_lshrrev_b32_e32 v80, v6, v5
	v_lshl_add_u32 v7, 0x100000, v6, -1
	v_lshlrev_b32_e64 v82, v6, 0x80000
	s_delay_alu instid0(VALU_DEP_4) | instskip(NEXT) | instid1(VALU_DEP_4)
	v_add_nc_u32_e32 v6, v6, v0
	v_bfe_u32 v81, v80, 20, 1
	s_delay_alu instid0(VALU_DEP_4) | instskip(NEXT) | instid1(VALU_DEP_2)
	v_and_b32_e32 v5, v7, v5
	v_add_nc_u32_e32 v7, -1, v81
	s_delay_alu instid0(VALU_DEP_2) | instskip(SKIP_1) | instid1(VALU_DEP_1)
	v_cmp_eq_u32_e64 s0, v5, v82
	s_wait_alu 0xf1ff
	v_cndmask_b32_e64 v5, 0, v7, s0
	v_lshrrev_b32_e32 v7, 23, v80
	s_mov_b32 s0, exec_lo
	s_delay_alu instid0(VALU_DEP_2) | instskip(NEXT) | instid1(VALU_DEP_2)
	v_add_nc_u32_e32 v5, v5, v80
	v_xor_b32_e32 v7, 1, v7
	s_delay_alu instid0(VALU_DEP_2) | instskip(NEXT) | instid1(VALU_DEP_1)
	v_and_b32_e32 v0, 0xfffff, v5
	v_add_nc_u32_e32 v5, v0, v80
                                        ; implicit-def: $vgpr0
	s_delay_alu instid0(VALU_DEP_3)
	v_cmpx_ne_u32_e64 v6, v7
	s_wait_alu 0xfffe
	s_xor_b32 s0, exec_lo, s0
; %bb.75:
	s_delay_alu instid0(VALU_DEP_2) | instskip(SKIP_3) | instid1(VALU_DEP_2)
	v_cmp_lt_u32_e32 vcc_lo, 0xffffff, v5
	v_sub_nc_u32_e32 v0, v6, v7
	s_wait_alu 0xfffd
	v_cndmask_b32_e64 v6, 0, 1, vcc_lo
	v_add_co_ci_u32_e64 v0, null, 0, v0, vcc_lo
	s_delay_alu instid0(VALU_DEP_2)
	v_lshrrev_b32_e32 v5, v6, v5
; %bb.76:
	s_wait_alu 0xfffe
	s_and_not1_saveexec_b32 s0, s0
; %bb.77:
	s_delay_alu instid0(VALU_DEP_1)
	v_bfe_u32 v0, v5, 23, 1
; %bb.78:
	s_wait_alu 0xfffe
	s_or_b32 exec_lo, exec_lo, s0
	v_lshrrev_b32_e32 v5, 20, v5
	s_delay_alu instid0(VALU_DEP_2) | instskip(SKIP_3) | instid1(VALU_DEP_3)
	v_min_i32_e32 v6, 15, v0
	v_cmp_gt_i32_e32 vcc_lo, 16, v0
	v_lshrrev_b32_e32 v1, 24, v1
	s_wait_alu 0xfffd
	v_dual_cndmask_b32 v5, 7, v5 :: v_dual_lshlrev_b32 v6, 3, v6
	s_delay_alu instid0(VALU_DEP_2) | instskip(NEXT) | instid1(VALU_DEP_2)
	v_and_b32_e32 v1, 0x80, v1
	v_and_b32_e32 v6, 0xf8, v6
	s_delay_alu instid0(VALU_DEP_3) | instskip(SKIP_1) | instid1(VALU_DEP_2)
	v_and_b32_e32 v7, 7, v5
	v_or_b32_e32 v0, v0, v5
	v_or3_b32 v1, v1, v6, v7
	s_delay_alu instid0(VALU_DEP_2) | instskip(NEXT) | instid1(VALU_DEP_2)
	v_cmp_ne_u32_e32 vcc_lo, 0, v0
	v_lshlrev_b32_e32 v1, 8, v1
	s_wait_alu 0xfffd
	s_delay_alu instid0(VALU_DEP_1)
	v_cndmask_b32_e32 v0, 0, v1, vcc_lo
.LBB4_79:
	s_wait_alu 0xfffe
	s_or_b32 exec_lo, exec_lo, s6
.LBB4_80:
	s_wait_alu 0xfffe
	s_or_b32 exec_lo, exec_lo, s2
	v_and_b32_e32 v1, 0x7f800000, v2
	v_mov_b32_e32 v85, 0x800000
	s_mov_b32 s2, exec_lo
	s_delay_alu instid0(VALU_DEP_2)
	v_cmpx_ne_u32_e32 0x7f800000, v1
	s_cbranch_execz .LBB4_88
; %bb.81:
	v_mov_b32_e32 v85, 0
	s_mov_b32 s6, exec_lo
	v_cmpx_ne_u32_e32 0, v2
	s_cbranch_execz .LBB4_87
; %bb.82:
	v_bfe_u32 v1, v2, 23, 8
	v_and_b32_e32 v5, 0x7fffff, v2
	s_delay_alu instid0(VALU_DEP_2) | instskip(SKIP_1) | instid1(VALU_DEP_3)
	v_sub_nc_u32_e32 v6, 0x78, v1
	v_cmp_gt_u32_e32 vcc_lo, 0x79, v1
	v_or_b32_e32 v7, 0x800000, v5
	s_wait_alu 0xfffd
	s_delay_alu instid0(VALU_DEP_3)
	v_cndmask_b32_e32 v6, 0, v6, vcc_lo
	v_cmp_eq_u32_e32 vcc_lo, 0, v1
	v_add_nc_u32_e32 v1, 0xffffff89, v1
	s_wait_alu 0xfffd
	v_cndmask_b32_e32 v5, v7, v5, vcc_lo
	v_cndmask_b32_e64 v6, v6, 0x77, vcc_lo
	s_delay_alu instid0(VALU_DEP_3) | instskip(NEXT) | instid1(VALU_DEP_2)
	v_cndmask_b32_e64 v1, v1, 0xffffff8a, vcc_lo
	v_lshrrev_b32_e32 v80, v6, v5
	v_lshl_add_u32 v7, 0x100000, v6, -1
	v_lshlrev_b32_e64 v82, v6, 0x80000
	s_delay_alu instid0(VALU_DEP_4) | instskip(NEXT) | instid1(VALU_DEP_4)
	v_add_nc_u32_e32 v6, v6, v1
	v_bfe_u32 v81, v80, 20, 1
	s_delay_alu instid0(VALU_DEP_4) | instskip(NEXT) | instid1(VALU_DEP_2)
	v_and_b32_e32 v5, v7, v5
	v_add_nc_u32_e32 v7, -1, v81
	s_delay_alu instid0(VALU_DEP_2) | instskip(SKIP_1) | instid1(VALU_DEP_1)
	v_cmp_eq_u32_e64 s0, v5, v82
	s_wait_alu 0xf1ff
	v_cndmask_b32_e64 v5, 0, v7, s0
	v_lshrrev_b32_e32 v7, 23, v80
	s_mov_b32 s0, exec_lo
	s_delay_alu instid0(VALU_DEP_2) | instskip(NEXT) | instid1(VALU_DEP_2)
	v_add_nc_u32_e32 v5, v5, v80
	v_xor_b32_e32 v7, 1, v7
	s_delay_alu instid0(VALU_DEP_2) | instskip(NEXT) | instid1(VALU_DEP_1)
	v_and_b32_e32 v1, 0xfffff, v5
	v_add_nc_u32_e32 v5, v1, v80
                                        ; implicit-def: $vgpr1
	s_delay_alu instid0(VALU_DEP_3)
	v_cmpx_ne_u32_e64 v6, v7
	s_wait_alu 0xfffe
	s_xor_b32 s0, exec_lo, s0
; %bb.83:
	s_delay_alu instid0(VALU_DEP_2) | instskip(SKIP_3) | instid1(VALU_DEP_2)
	v_cmp_lt_u32_e32 vcc_lo, 0xffffff, v5
	v_sub_nc_u32_e32 v1, v6, v7
	s_wait_alu 0xfffd
	v_cndmask_b32_e64 v6, 0, 1, vcc_lo
	v_add_co_ci_u32_e64 v1, null, 0, v1, vcc_lo
	s_delay_alu instid0(VALU_DEP_2)
	v_lshrrev_b32_e32 v5, v6, v5
; %bb.84:
	s_wait_alu 0xfffe
	s_and_not1_saveexec_b32 s0, s0
; %bb.85:
	s_delay_alu instid0(VALU_DEP_1)
	v_bfe_u32 v1, v5, 23, 1
; %bb.86:
	s_wait_alu 0xfffe
	s_or_b32 exec_lo, exec_lo, s0
	v_lshrrev_b32_e32 v5, 20, v5
	s_delay_alu instid0(VALU_DEP_2) | instskip(SKIP_3) | instid1(VALU_DEP_3)
	v_min_i32_e32 v6, 15, v1
	v_cmp_gt_i32_e32 vcc_lo, 16, v1
	v_lshrrev_b32_e32 v2, 24, v2
	s_wait_alu 0xfffd
	v_dual_cndmask_b32 v5, 7, v5 :: v_dual_lshlrev_b32 v6, 3, v6
	s_delay_alu instid0(VALU_DEP_2) | instskip(NEXT) | instid1(VALU_DEP_2)
	v_and_b32_e32 v2, 0x80, v2
	v_and_b32_e32 v6, 0xf8, v6
	s_delay_alu instid0(VALU_DEP_3) | instskip(SKIP_1) | instid1(VALU_DEP_2)
	v_and_b32_e32 v7, 7, v5
	v_or_b32_e32 v1, v1, v5
	v_or3_b32 v2, v2, v6, v7
	s_delay_alu instid0(VALU_DEP_2) | instskip(NEXT) | instid1(VALU_DEP_2)
	v_cmp_ne_u32_e32 vcc_lo, 0, v1
	v_lshlrev_b32_e32 v2, 16, v2
	s_wait_alu 0xfffd
	s_delay_alu instid0(VALU_DEP_1)
	v_cndmask_b32_e32 v85, 0, v2, vcc_lo
.LBB4_87:
	s_wait_alu 0xfffe
	s_or_b32 exec_lo, exec_lo, s6
.LBB4_88:
	s_wait_alu 0xfffe
	s_or_b32 exec_lo, exec_lo, s2
	v_and_b32_e32 v1, 0x7f800000, v3
	v_bfrev_b32_e32 v86, 1
	s_mov_b32 s2, exec_lo
	s_delay_alu instid0(VALU_DEP_2)
	v_cmpx_ne_u32_e32 0x7f800000, v1
	s_cbranch_execz .LBB4_96
; %bb.89:
	v_mov_b32_e32 v86, 0
	s_mov_b32 s6, exec_lo
	v_cmpx_ne_u32_e32 0, v3
	s_cbranch_execz .LBB4_95
; %bb.90:
	v_bfe_u32 v1, v3, 23, 8
	s_delay_alu instid0(VALU_DEP_1) | instskip(SKIP_2) | instid1(VALU_DEP_2)
	v_sub_nc_u32_e32 v5, 0x78, v1
	v_cmp_gt_u32_e32 vcc_lo, 0x79, v1
	s_wait_alu 0xfffd
	v_dual_cndmask_b32 v5, 0, v5 :: v_dual_and_b32 v2, 0x7fffff, v3
	s_delay_alu instid0(VALU_DEP_1) | instskip(SKIP_2) | instid1(VALU_DEP_2)
	v_or_b32_e32 v6, 0x800000, v2
	v_cmp_eq_u32_e32 vcc_lo, 0, v1
	s_wait_alu 0xfffd
	v_dual_cndmask_b32 v2, v6, v2 :: v_dual_add_nc_u32 v1, 0xffffff89, v1
	v_cndmask_b32_e64 v5, v5, 0x77, vcc_lo
	s_delay_alu instid0(VALU_DEP_2) | instskip(NEXT) | instid1(VALU_DEP_2)
	v_cndmask_b32_e64 v1, v1, 0xffffff8a, vcc_lo
	v_lshrrev_b32_e32 v7, v5, v2
	v_lshl_add_u32 v6, 0x100000, v5, -1
	v_lshlrev_b32_e64 v81, v5, 0x80000
	s_delay_alu instid0(VALU_DEP_4) | instskip(NEXT) | instid1(VALU_DEP_4)
	v_add_nc_u32_e32 v5, v5, v1
	v_bfe_u32 v80, v7, 20, 1
	s_delay_alu instid0(VALU_DEP_4) | instskip(NEXT) | instid1(VALU_DEP_2)
	v_and_b32_e32 v2, v6, v2
	v_add_nc_u32_e32 v6, -1, v80
	s_delay_alu instid0(VALU_DEP_2) | instskip(SKIP_1) | instid1(VALU_DEP_1)
	v_cmp_eq_u32_e64 s0, v2, v81
	s_wait_alu 0xf1ff
	v_cndmask_b32_e64 v2, 0, v6, s0
	v_lshrrev_b32_e32 v6, 23, v7
	s_mov_b32 s0, exec_lo
	s_delay_alu instid0(VALU_DEP_2) | instskip(NEXT) | instid1(VALU_DEP_2)
	v_add_nc_u32_e32 v2, v2, v7
	v_xor_b32_e32 v6, 1, v6
	s_delay_alu instid0(VALU_DEP_2) | instskip(NEXT) | instid1(VALU_DEP_1)
	v_and_b32_e32 v1, 0xfffff, v2
	v_add_nc_u32_e32 v2, v1, v7
                                        ; implicit-def: $vgpr1
	s_delay_alu instid0(VALU_DEP_3)
	v_cmpx_ne_u32_e64 v5, v6
	s_wait_alu 0xfffe
	s_xor_b32 s0, exec_lo, s0
; %bb.91:
	s_delay_alu instid0(VALU_DEP_2) | instskip(SKIP_3) | instid1(VALU_DEP_2)
	v_cmp_lt_u32_e32 vcc_lo, 0xffffff, v2
	v_sub_nc_u32_e32 v1, v5, v6
	s_wait_alu 0xfffd
	v_cndmask_b32_e64 v5, 0, 1, vcc_lo
	v_add_co_ci_u32_e64 v1, null, 0, v1, vcc_lo
	s_delay_alu instid0(VALU_DEP_2)
	v_lshrrev_b32_e32 v2, v5, v2
; %bb.92:
	s_wait_alu 0xfffe
	s_and_not1_saveexec_b32 s0, s0
; %bb.93:
	s_delay_alu instid0(VALU_DEP_1)
	v_bfe_u32 v1, v2, 23, 1
; %bb.94:
	s_wait_alu 0xfffe
	s_or_b32 exec_lo, exec_lo, s0
	v_lshrrev_b32_e32 v2, 20, v2
	s_delay_alu instid0(VALU_DEP_2) | instskip(SKIP_3) | instid1(VALU_DEP_2)
	v_cmp_gt_i32_e32 vcc_lo, 16, v1
	v_lshrrev_b32_e32 v3, 24, v3
	v_min_i32_e32 v5, 15, v1
	s_wait_alu 0xfffd
	v_dual_cndmask_b32 v2, 7, v2 :: v_dual_and_b32 v3, 0x80, v3
	s_delay_alu instid0(VALU_DEP_1) | instskip(SKIP_1) | instid1(VALU_DEP_2)
	v_or_b32_e32 v1, v1, v2
	v_and_b32_e32 v6, 7, v2
	v_cmp_ne_u32_e32 vcc_lo, 0, v1
	v_lshlrev_b32_e32 v5, 3, v5
	s_delay_alu instid0(VALU_DEP_1) | instskip(NEXT) | instid1(VALU_DEP_1)
	v_or3_b32 v3, v3, v5, v6
	v_lshlrev_b32_e32 v2, 24, v3
	s_wait_alu 0xfffd
	s_delay_alu instid0(VALU_DEP_1)
	v_cndmask_b32_e32 v86, 0, v2, vcc_lo
.LBB4_95:
	s_wait_alu 0xfffe
	s_or_b32 exec_lo, exec_lo, s6
.LBB4_96:
	s_wait_alu 0xfffe
	s_or_b32 exec_lo, exec_lo, s2
	ds_load_b128 v[80:83], v92 offset:16
	v_or_b32_e32 v87, v0, v4
	v_wmma_f32_16x16x16_fp8_fp8 v[0:7], v[76:77], v[28:29], 0
	s_mov_b32 s6, s1
	s_mov_b32 s2, exec_lo
	s_delay_alu instid0(VALU_DEP_2) | instskip(SKIP_4) | instid1(VALU_DEP_1)
	v_or3_b32 v86, v85, v87, v86
	v_mov_b32_e32 v85, 0x80
	buffer_store_b32 v86, v84, s[4:7], null offen offset:64
	s_wait_dscnt 0x0
	v_and_b32_e32 v88, 0x7f800000, v80
	v_cmpx_ne_u32_e32 0x7f800000, v88
	s_cbranch_execz .LBB4_104
; %bb.97:
	v_mov_b32_e32 v85, 0
	s_mov_b32 s6, exec_lo
	v_cmpx_ne_u32_e32 0, v80
	s_cbranch_execz .LBB4_103
; %bb.98:
	v_bfe_u32 v85, v80, 23, 8
	s_delay_alu instid0(VALU_DEP_1) | instskip(SKIP_2) | instid1(VALU_DEP_2)
	v_sub_nc_u32_e32 v87, 0x78, v85
	v_cmp_gt_u32_e32 vcc_lo, 0x79, v85
	s_wait_alu 0xfffd
	v_dual_cndmask_b32 v87, 0, v87 :: v_dual_and_b32 v86, 0x7fffff, v80
	s_delay_alu instid0(VALU_DEP_1) | instskip(SKIP_2) | instid1(VALU_DEP_2)
	v_or_b32_e32 v88, 0x800000, v86
	v_cmp_eq_u32_e32 vcc_lo, 0, v85
	s_wait_alu 0xfffd
	v_dual_cndmask_b32 v86, v88, v86 :: v_dual_add_nc_u32 v85, 0xffffff89, v85
	v_cndmask_b32_e64 v87, v87, 0x77, vcc_lo
	s_delay_alu instid0(VALU_DEP_2) | instskip(NEXT) | instid1(VALU_DEP_2)
	v_cndmask_b32_e64 v85, v85, 0xffffff8a, vcc_lo
	v_lshrrev_b32_e32 v89, v87, v86
	v_lshl_add_u32 v88, 0x100000, v87, -1
	v_lshlrev_b32_e64 v91, v87, 0x80000
	s_delay_alu instid0(VALU_DEP_4) | instskip(NEXT) | instid1(VALU_DEP_4)
	v_add_nc_u32_e32 v87, v87, v85
	v_bfe_u32 v90, v89, 20, 1
	s_delay_alu instid0(VALU_DEP_4) | instskip(NEXT) | instid1(VALU_DEP_2)
	v_and_b32_e32 v86, v88, v86
	v_add_nc_u32_e32 v88, -1, v90
	s_delay_alu instid0(VALU_DEP_2) | instskip(SKIP_1) | instid1(VALU_DEP_1)
	v_cmp_eq_u32_e64 s0, v86, v91
	s_wait_alu 0xf1ff
	v_cndmask_b32_e64 v86, 0, v88, s0
	v_lshrrev_b32_e32 v88, 23, v89
	s_mov_b32 s0, exec_lo
	s_delay_alu instid0(VALU_DEP_2) | instskip(NEXT) | instid1(VALU_DEP_2)
	v_add_nc_u32_e32 v86, v86, v89
	v_xor_b32_e32 v88, 1, v88
	s_delay_alu instid0(VALU_DEP_2) | instskip(NEXT) | instid1(VALU_DEP_1)
	v_and_b32_e32 v85, 0xfffff, v86
	v_add_nc_u32_e32 v86, v85, v89
                                        ; implicit-def: $vgpr85
	s_delay_alu instid0(VALU_DEP_3)
	v_cmpx_ne_u32_e64 v87, v88
	s_wait_alu 0xfffe
	s_xor_b32 s0, exec_lo, s0
; %bb.99:
	s_delay_alu instid0(VALU_DEP_2) | instskip(SKIP_3) | instid1(VALU_DEP_2)
	v_cmp_lt_u32_e32 vcc_lo, 0xffffff, v86
	v_sub_nc_u32_e32 v85, v87, v88
	s_wait_alu 0xfffd
	v_cndmask_b32_e64 v87, 0, 1, vcc_lo
	v_add_co_ci_u32_e64 v85, null, 0, v85, vcc_lo
	s_delay_alu instid0(VALU_DEP_2)
	v_lshrrev_b32_e32 v86, v87, v86
; %bb.100:
	s_wait_alu 0xfffe
	s_and_not1_saveexec_b32 s0, s0
; %bb.101:
	s_delay_alu instid0(VALU_DEP_1)
	v_bfe_u32 v85, v86, 23, 1
; %bb.102:
	s_wait_alu 0xfffe
	s_or_b32 exec_lo, exec_lo, s0
	v_lshrrev_b32_e32 v86, 20, v86
	s_delay_alu instid0(VALU_DEP_2) | instskip(SKIP_3) | instid1(VALU_DEP_2)
	v_cmp_gt_i32_e32 vcc_lo, 16, v85
	v_min_i32_e32 v87, 15, v85
	v_lshrrev_b32_e32 v80, 24, v80
	s_wait_alu 0xfffd
	v_dual_cndmask_b32 v86, 7, v86 :: v_dual_lshlrev_b32 v87, 3, v87
	s_delay_alu instid0(VALU_DEP_2) | instskip(NEXT) | instid1(VALU_DEP_2)
	v_and_b32_e32 v80, 0x80, v80
	v_or_b32_e32 v85, v85, v86
	s_delay_alu instid0(VALU_DEP_3) | instskip(NEXT) | instid1(VALU_DEP_2)
	v_and_b32_e32 v87, 0xf8, v87
	v_cmp_ne_u32_e32 vcc_lo, 0, v85
	v_and_b32_e32 v88, 7, v86
	s_delay_alu instid0(VALU_DEP_1) | instskip(SKIP_1) | instid1(VALU_DEP_1)
	v_or3_b32 v80, v87, v80, v88
	s_wait_alu 0xfffd
	v_cndmask_b32_e32 v85, 0, v80, vcc_lo
.LBB4_103:
	s_wait_alu 0xfffe
	s_or_b32 exec_lo, exec_lo, s6
.LBB4_104:
	s_delay_alu instid0(SALU_CYCLE_1) | instskip(SKIP_2) | instid1(VALU_DEP_2)
	s_or_b32 exec_lo, exec_lo, s2
	v_and_b32_e32 v80, 0x7f800000, v81
	v_wmma_f32_16x16x16_fp8_fp8 v[0:7], v[78:79], v[30:31], v[0:7]
	v_cmp_ne_u32_e32 vcc_lo, 0x7f800000, v80
	v_mov_b32_e32 v80, 0x8000
	s_and_saveexec_b32 s2, vcc_lo
	s_cbranch_execz .LBB4_112
; %bb.105:
	v_mov_b32_e32 v80, 0
	s_mov_b32 s6, exec_lo
	v_cmpx_ne_u32_e32 0, v81
	s_cbranch_execz .LBB4_111
; %bb.106:
	v_bfe_u32 v80, v81, 23, 8
	s_delay_alu instid0(VALU_DEP_1) | instskip(SKIP_2) | instid1(VALU_DEP_2)
	v_sub_nc_u32_e32 v87, 0x78, v80
	v_cmp_gt_u32_e32 vcc_lo, 0x79, v80
	s_wait_alu 0xfffd
	v_dual_cndmask_b32 v87, 0, v87 :: v_dual_and_b32 v86, 0x7fffff, v81
	s_delay_alu instid0(VALU_DEP_1) | instskip(SKIP_4) | instid1(VALU_DEP_2)
	v_or_b32_e32 v88, 0x800000, v86
	v_cmp_eq_u32_e32 vcc_lo, 0, v80
	v_add_nc_u32_e32 v80, 0xffffff89, v80
	s_wait_alu 0xfffd
	v_cndmask_b32_e64 v87, v87, 0x77, vcc_lo
	v_cndmask_b32_e64 v80, v80, 0xffffff8a, vcc_lo
	v_cndmask_b32_e32 v86, v88, v86, vcc_lo
	s_delay_alu instid0(VALU_DEP_3) | instskip(SKIP_1) | instid1(VALU_DEP_3)
	v_lshl_add_u32 v88, 0x100000, v87, -1
	v_lshlrev_b32_e64 v91, v87, 0x80000
	v_lshrrev_b32_e32 v89, v87, v86
	v_add_nc_u32_e32 v87, v87, v80
	s_delay_alu instid0(VALU_DEP_4) | instskip(NEXT) | instid1(VALU_DEP_3)
	v_and_b32_e32 v86, v88, v86
	v_bfe_u32 v90, v89, 20, 1
	s_delay_alu instid0(VALU_DEP_2) | instskip(NEXT) | instid1(VALU_DEP_2)
	v_cmp_eq_u32_e64 s0, v86, v91
	v_add_nc_u32_e32 v88, -1, v90
	s_wait_alu 0xf1ff
	s_delay_alu instid0(VALU_DEP_1) | instskip(SKIP_2) | instid1(VALU_DEP_2)
	v_cndmask_b32_e64 v86, 0, v88, s0
	v_lshrrev_b32_e32 v88, 23, v89
	s_mov_b32 s0, exec_lo
	v_add_nc_u32_e32 v86, v86, v89
	s_delay_alu instid0(VALU_DEP_2) | instskip(NEXT) | instid1(VALU_DEP_2)
	v_xor_b32_e32 v88, 1, v88
	v_and_b32_e32 v80, 0xfffff, v86
	s_delay_alu instid0(VALU_DEP_1) | instskip(NEXT) | instid1(VALU_DEP_3)
	v_add_nc_u32_e32 v86, v80, v89
                                        ; implicit-def: $vgpr80
	v_cmpx_ne_u32_e64 v87, v88
	s_wait_alu 0xfffe
	s_xor_b32 s0, exec_lo, s0
; %bb.107:
	s_delay_alu instid0(VALU_DEP_2) | instskip(SKIP_3) | instid1(VALU_DEP_2)
	v_cmp_lt_u32_e32 vcc_lo, 0xffffff, v86
	v_sub_nc_u32_e32 v80, v87, v88
	s_wait_alu 0xfffd
	v_cndmask_b32_e64 v87, 0, 1, vcc_lo
	v_add_co_ci_u32_e64 v80, null, 0, v80, vcc_lo
	s_delay_alu instid0(VALU_DEP_2)
	v_lshrrev_b32_e32 v86, v87, v86
; %bb.108:
	s_wait_alu 0xfffe
	s_and_not1_saveexec_b32 s0, s0
; %bb.109:
	s_delay_alu instid0(VALU_DEP_1)
	v_bfe_u32 v80, v86, 23, 1
; %bb.110:
	s_wait_alu 0xfffe
	s_or_b32 exec_lo, exec_lo, s0
	v_lshrrev_b32_e32 v86, 20, v86
	s_delay_alu instid0(VALU_DEP_2) | instskip(SKIP_3) | instid1(VALU_DEP_2)
	v_cmp_gt_i32_e32 vcc_lo, 16, v80
	v_min_i32_e32 v87, 15, v80
	v_lshrrev_b32_e32 v81, 24, v81
	s_wait_alu 0xfffd
	v_dual_cndmask_b32 v86, 7, v86 :: v_dual_lshlrev_b32 v87, 3, v87
	s_delay_alu instid0(VALU_DEP_2) | instskip(NEXT) | instid1(VALU_DEP_2)
	v_and_b32_e32 v81, 0x80, v81
	v_or_b32_e32 v80, v80, v86
	v_and_b32_e32 v88, 7, v86
	s_delay_alu instid0(VALU_DEP_2) | instskip(SKIP_1) | instid1(VALU_DEP_1)
	v_cmp_ne_u32_e32 vcc_lo, 0, v80
	v_and_b32_e32 v87, 0xf8, v87
	v_or3_b32 v81, v81, v87, v88
	s_delay_alu instid0(VALU_DEP_1) | instskip(SKIP_1) | instid1(VALU_DEP_1)
	v_lshlrev_b32_e32 v81, 8, v81
	s_wait_alu 0xfffd
	v_cndmask_b32_e32 v80, 0, v81, vcc_lo
.LBB4_111:
	s_wait_alu 0xfffe
	s_or_b32 exec_lo, exec_lo, s6
.LBB4_112:
	s_wait_alu 0xfffe
	s_or_b32 exec_lo, exec_lo, s2
	v_and_b32_e32 v81, 0x7f800000, v82
	v_wmma_f32_16x16x16_fp8_fp8 v[0:7], v[72:73], v[24:25], v[0:7]
	s_delay_alu instid0(VALU_DEP_2)
	v_cmp_ne_u32_e32 vcc_lo, 0x7f800000, v81
	v_mov_b32_e32 v81, 0x800000
	s_and_saveexec_b32 s2, vcc_lo
	s_cbranch_execz .LBB4_120
; %bb.113:
	v_mov_b32_e32 v81, 0
	s_mov_b32 s6, exec_lo
	v_cmpx_ne_u32_e32 0, v82
	s_cbranch_execz .LBB4_119
; %bb.114:
	v_bfe_u32 v81, v82, 23, 8
	s_delay_alu instid0(VALU_DEP_1) | instskip(SKIP_2) | instid1(VALU_DEP_2)
	v_sub_nc_u32_e32 v87, 0x78, v81
	v_cmp_gt_u32_e32 vcc_lo, 0x79, v81
	s_wait_alu 0xfffd
	v_dual_cndmask_b32 v87, 0, v87 :: v_dual_and_b32 v86, 0x7fffff, v82
	s_delay_alu instid0(VALU_DEP_1) | instskip(SKIP_2) | instid1(VALU_DEP_2)
	v_or_b32_e32 v88, 0x800000, v86
	v_cmp_eq_u32_e32 vcc_lo, 0, v81
	s_wait_alu 0xfffd
	v_dual_cndmask_b32 v86, v88, v86 :: v_dual_add_nc_u32 v81, 0xffffff89, v81
	v_cndmask_b32_e64 v87, v87, 0x77, vcc_lo
	s_delay_alu instid0(VALU_DEP_2) | instskip(NEXT) | instid1(VALU_DEP_2)
	v_cndmask_b32_e64 v81, v81, 0xffffff8a, vcc_lo
	v_lshrrev_b32_e32 v89, v87, v86
	v_lshl_add_u32 v88, 0x100000, v87, -1
	v_lshlrev_b32_e64 v91, v87, 0x80000
	s_delay_alu instid0(VALU_DEP_4) | instskip(NEXT) | instid1(VALU_DEP_4)
	v_add_nc_u32_e32 v87, v87, v81
	v_bfe_u32 v90, v89, 20, 1
	s_delay_alu instid0(VALU_DEP_4) | instskip(NEXT) | instid1(VALU_DEP_2)
	v_and_b32_e32 v86, v88, v86
	v_add_nc_u32_e32 v88, -1, v90
	s_delay_alu instid0(VALU_DEP_2) | instskip(SKIP_1) | instid1(VALU_DEP_1)
	v_cmp_eq_u32_e64 s0, v86, v91
	s_wait_alu 0xf1ff
	v_cndmask_b32_e64 v86, 0, v88, s0
	v_lshrrev_b32_e32 v88, 23, v89
	s_mov_b32 s0, exec_lo
	s_delay_alu instid0(VALU_DEP_2) | instskip(NEXT) | instid1(VALU_DEP_2)
	v_add_nc_u32_e32 v86, v86, v89
	v_xor_b32_e32 v88, 1, v88
	s_delay_alu instid0(VALU_DEP_2) | instskip(NEXT) | instid1(VALU_DEP_1)
	v_and_b32_e32 v81, 0xfffff, v86
	v_add_nc_u32_e32 v86, v81, v89
                                        ; implicit-def: $vgpr81
	s_delay_alu instid0(VALU_DEP_3)
	v_cmpx_ne_u32_e64 v87, v88
	s_wait_alu 0xfffe
	s_xor_b32 s0, exec_lo, s0
; %bb.115:
	s_delay_alu instid0(VALU_DEP_2) | instskip(SKIP_3) | instid1(VALU_DEP_2)
	v_cmp_lt_u32_e32 vcc_lo, 0xffffff, v86
	v_sub_nc_u32_e32 v81, v87, v88
	s_wait_alu 0xfffd
	v_cndmask_b32_e64 v87, 0, 1, vcc_lo
	v_add_co_ci_u32_e64 v81, null, 0, v81, vcc_lo
	s_delay_alu instid0(VALU_DEP_2)
	v_lshrrev_b32_e32 v86, v87, v86
; %bb.116:
	s_wait_alu 0xfffe
	s_and_not1_saveexec_b32 s0, s0
; %bb.117:
	s_delay_alu instid0(VALU_DEP_1)
	v_bfe_u32 v81, v86, 23, 1
; %bb.118:
	s_wait_alu 0xfffe
	s_or_b32 exec_lo, exec_lo, s0
	v_lshrrev_b32_e32 v86, 20, v86
	s_delay_alu instid0(VALU_DEP_2) | instskip(SKIP_3) | instid1(VALU_DEP_3)
	v_min_i32_e32 v87, 15, v81
	v_cmp_gt_i32_e32 vcc_lo, 16, v81
	v_lshrrev_b32_e32 v82, 24, v82
	s_wait_alu 0xfffd
	v_dual_cndmask_b32 v86, 7, v86 :: v_dual_lshlrev_b32 v87, 3, v87
	s_delay_alu instid0(VALU_DEP_2) | instskip(NEXT) | instid1(VALU_DEP_2)
	v_and_b32_e32 v82, 0x80, v82
	v_and_b32_e32 v87, 0xf8, v87
	s_delay_alu instid0(VALU_DEP_3) | instskip(SKIP_1) | instid1(VALU_DEP_2)
	v_and_b32_e32 v88, 7, v86
	v_or_b32_e32 v81, v81, v86
	v_or3_b32 v82, v82, v87, v88
	s_delay_alu instid0(VALU_DEP_2) | instskip(NEXT) | instid1(VALU_DEP_2)
	v_cmp_ne_u32_e32 vcc_lo, 0, v81
	v_lshlrev_b32_e32 v82, 16, v82
	s_wait_alu 0xfffd
	s_delay_alu instid0(VALU_DEP_1)
	v_cndmask_b32_e32 v81, 0, v82, vcc_lo
.LBB4_119:
	s_wait_alu 0xfffe
	s_or_b32 exec_lo, exec_lo, s6
.LBB4_120:
	s_wait_alu 0xfffe
	s_or_b32 exec_lo, exec_lo, s2
	v_and_b32_e32 v82, 0x7f800000, v83
	v_wmma_f32_16x16x16_fp8_fp8 v[0:7], v[74:75], v[26:27], v[0:7]
	s_delay_alu instid0(VALU_DEP_2)
	v_cmp_ne_u32_e32 vcc_lo, 0x7f800000, v82
	v_bfrev_b32_e32 v82, 1
	s_and_saveexec_b32 s2, vcc_lo
	s_cbranch_execz .LBB4_128
; %bb.121:
	v_mov_b32_e32 v82, 0
	s_mov_b32 s6, exec_lo
	v_cmpx_ne_u32_e32 0, v83
	s_cbranch_execz .LBB4_127
; %bb.122:
	v_bfe_u32 v82, v83, 23, 8
	v_and_b32_e32 v86, 0x7fffff, v83
	s_delay_alu instid0(VALU_DEP_2) | instskip(SKIP_1) | instid1(VALU_DEP_3)
	v_sub_nc_u32_e32 v87, 0x78, v82
	v_cmp_gt_u32_e32 vcc_lo, 0x79, v82
	v_or_b32_e32 v88, 0x800000, v86
	s_wait_alu 0xfffd
	s_delay_alu instid0(VALU_DEP_3)
	v_cndmask_b32_e32 v87, 0, v87, vcc_lo
	v_cmp_eq_u32_e32 vcc_lo, 0, v82
	v_add_nc_u32_e32 v82, 0xffffff89, v82
	s_wait_alu 0xfffd
	v_cndmask_b32_e32 v86, v88, v86, vcc_lo
	v_cndmask_b32_e64 v87, v87, 0x77, vcc_lo
	s_delay_alu instid0(VALU_DEP_3) | instskip(NEXT) | instid1(VALU_DEP_2)
	v_cndmask_b32_e64 v82, v82, 0xffffff8a, vcc_lo
	v_lshrrev_b32_e32 v89, v87, v86
	v_lshl_add_u32 v88, 0x100000, v87, -1
	v_lshlrev_b32_e64 v91, v87, 0x80000
	s_delay_alu instid0(VALU_DEP_4) | instskip(NEXT) | instid1(VALU_DEP_4)
	v_add_nc_u32_e32 v87, v87, v82
	v_bfe_u32 v90, v89, 20, 1
	s_delay_alu instid0(VALU_DEP_4) | instskip(NEXT) | instid1(VALU_DEP_2)
	v_and_b32_e32 v86, v88, v86
	v_add_nc_u32_e32 v88, -1, v90
	s_delay_alu instid0(VALU_DEP_2) | instskip(SKIP_1) | instid1(VALU_DEP_1)
	v_cmp_eq_u32_e64 s0, v86, v91
	s_wait_alu 0xf1ff
	v_cndmask_b32_e64 v86, 0, v88, s0
	v_lshrrev_b32_e32 v88, 23, v89
	s_mov_b32 s0, exec_lo
	s_delay_alu instid0(VALU_DEP_2) | instskip(NEXT) | instid1(VALU_DEP_2)
	v_add_nc_u32_e32 v86, v86, v89
	v_xor_b32_e32 v88, 1, v88
	s_delay_alu instid0(VALU_DEP_2) | instskip(NEXT) | instid1(VALU_DEP_1)
	v_and_b32_e32 v82, 0xfffff, v86
	v_add_nc_u32_e32 v86, v82, v89
                                        ; implicit-def: $vgpr82
	s_delay_alu instid0(VALU_DEP_3)
	v_cmpx_ne_u32_e64 v87, v88
	s_wait_alu 0xfffe
	s_xor_b32 s0, exec_lo, s0
; %bb.123:
	s_delay_alu instid0(VALU_DEP_2) | instskip(SKIP_3) | instid1(VALU_DEP_2)
	v_cmp_lt_u32_e32 vcc_lo, 0xffffff, v86
	v_sub_nc_u32_e32 v82, v87, v88
	s_wait_alu 0xfffd
	v_cndmask_b32_e64 v87, 0, 1, vcc_lo
	v_add_co_ci_u32_e64 v82, null, 0, v82, vcc_lo
	s_delay_alu instid0(VALU_DEP_2)
	v_lshrrev_b32_e32 v86, v87, v86
; %bb.124:
	s_wait_alu 0xfffe
	s_and_not1_saveexec_b32 s0, s0
; %bb.125:
	s_delay_alu instid0(VALU_DEP_1)
	v_bfe_u32 v82, v86, 23, 1
; %bb.126:
	s_wait_alu 0xfffe
	s_or_b32 exec_lo, exec_lo, s0
	v_lshrrev_b32_e32 v86, 20, v86
	s_delay_alu instid0(VALU_DEP_2) | instskip(SKIP_3) | instid1(VALU_DEP_2)
	v_cmp_gt_i32_e32 vcc_lo, 16, v82
	v_lshrrev_b32_e32 v83, 24, v83
	v_min_i32_e32 v87, 15, v82
	s_wait_alu 0xfffd
	v_dual_cndmask_b32 v86, 7, v86 :: v_dual_and_b32 v83, 0x80, v83
	s_delay_alu instid0(VALU_DEP_2) | instskip(NEXT) | instid1(VALU_DEP_2)
	v_lshlrev_b32_e32 v87, 3, v87
	v_and_b32_e32 v88, 7, v86
	v_or_b32_e32 v82, v82, v86
	s_delay_alu instid0(VALU_DEP_2) | instskip(NEXT) | instid1(VALU_DEP_2)
	v_or3_b32 v83, v83, v87, v88
	v_cmp_ne_u32_e32 vcc_lo, 0, v82
	s_delay_alu instid0(VALU_DEP_2) | instskip(SKIP_1) | instid1(VALU_DEP_1)
	v_lshlrev_b32_e32 v83, 24, v83
	s_wait_alu 0xfffd
	v_cndmask_b32_e32 v82, 0, v83, vcc_lo
.LBB4_127:
	s_wait_alu 0xfffe
	s_or_b32 exec_lo, exec_lo, s6
.LBB4_128:
	s_wait_alu 0xfffe
	s_or_b32 exec_lo, exec_lo, s2
	v_or_b32_e32 v80, v80, v85
	s_mov_b32 s6, s1
	s_delay_alu instid0(VALU_DEP_1)
	v_or3_b32 v80, v81, v80, v82
	buffer_store_b32 v80, v84, s[4:7], null offen offset:68
	s_wait_dscnt 0x0
	s_barrier_signal -1
	s_barrier_wait -1
	ds_store_2addr_stride64_b32 v93, v0, v1 offset1:1
	ds_store_2addr_stride64_b32 v93, v2, v3 offset0:2 offset1:3
	ds_store_2addr_stride64_b32 v93, v4, v5 offset0:4 offset1:5
	;; [unrolled: 1-line block ×3, first 2 shown]
	s_wait_dscnt 0x0
	s_barrier_signal -1
	s_barrier_wait -1
	ds_load_b128 v[0:3], v92
	s_wait_dscnt 0x0
	v_and_b32_e32 v4, 0x7f800000, v0
	s_delay_alu instid0(VALU_DEP_1)
	v_cmp_ne_u32_e32 vcc_lo, 0x7f800000, v4
	v_mov_b32_e32 v4, 0x80
	s_and_saveexec_b32 s2, vcc_lo
	s_cbranch_execz .LBB4_136
; %bb.129:
	v_mov_b32_e32 v4, 0
	s_mov_b32 s6, exec_lo
	v_cmpx_ne_u32_e32 0, v0
	s_cbranch_execz .LBB4_135
; %bb.130:
	v_bfe_u32 v4, v0, 23, 8
	s_delay_alu instid0(VALU_DEP_1) | instskip(SKIP_2) | instid1(VALU_DEP_2)
	v_sub_nc_u32_e32 v6, 0x78, v4
	v_cmp_gt_u32_e32 vcc_lo, 0x79, v4
	s_wait_alu 0xfffd
	v_dual_cndmask_b32 v6, 0, v6 :: v_dual_and_b32 v5, 0x7fffff, v0
	s_delay_alu instid0(VALU_DEP_1) | instskip(SKIP_2) | instid1(VALU_DEP_2)
	v_or_b32_e32 v7, 0x800000, v5
	v_cmp_eq_u32_e32 vcc_lo, 0, v4
	s_wait_alu 0xfffd
	v_dual_cndmask_b32 v5, v7, v5 :: v_dual_add_nc_u32 v4, 0xffffff89, v4
	v_cndmask_b32_e64 v6, v6, 0x77, vcc_lo
	s_delay_alu instid0(VALU_DEP_2) | instskip(NEXT) | instid1(VALU_DEP_2)
	v_cndmask_b32_e64 v4, v4, 0xffffff8a, vcc_lo
	v_lshrrev_b32_e32 v80, v6, v5
	v_lshl_add_u32 v7, 0x100000, v6, -1
	v_lshlrev_b32_e64 v82, v6, 0x80000
	s_delay_alu instid0(VALU_DEP_4) | instskip(NEXT) | instid1(VALU_DEP_4)
	v_add_nc_u32_e32 v6, v6, v4
	v_bfe_u32 v81, v80, 20, 1
	s_delay_alu instid0(VALU_DEP_4) | instskip(NEXT) | instid1(VALU_DEP_2)
	v_and_b32_e32 v5, v7, v5
	v_add_nc_u32_e32 v7, -1, v81
	s_delay_alu instid0(VALU_DEP_2) | instskip(SKIP_1) | instid1(VALU_DEP_1)
	v_cmp_eq_u32_e64 s0, v5, v82
	s_wait_alu 0xf1ff
	v_cndmask_b32_e64 v5, 0, v7, s0
	v_lshrrev_b32_e32 v7, 23, v80
	s_mov_b32 s0, exec_lo
	s_delay_alu instid0(VALU_DEP_2) | instskip(NEXT) | instid1(VALU_DEP_2)
	v_add_nc_u32_e32 v5, v5, v80
	v_xor_b32_e32 v7, 1, v7
	s_delay_alu instid0(VALU_DEP_2) | instskip(NEXT) | instid1(VALU_DEP_1)
	v_and_b32_e32 v4, 0xfffff, v5
	v_add_nc_u32_e32 v5, v4, v80
                                        ; implicit-def: $vgpr4
	s_delay_alu instid0(VALU_DEP_3)
	v_cmpx_ne_u32_e64 v6, v7
	s_wait_alu 0xfffe
	s_xor_b32 s0, exec_lo, s0
; %bb.131:
	s_delay_alu instid0(VALU_DEP_2) | instskip(SKIP_3) | instid1(VALU_DEP_2)
	v_cmp_lt_u32_e32 vcc_lo, 0xffffff, v5
	v_sub_nc_u32_e32 v4, v6, v7
	s_wait_alu 0xfffd
	v_cndmask_b32_e64 v6, 0, 1, vcc_lo
	v_add_co_ci_u32_e64 v4, null, 0, v4, vcc_lo
	s_delay_alu instid0(VALU_DEP_2)
	v_lshrrev_b32_e32 v5, v6, v5
; %bb.132:
	s_wait_alu 0xfffe
	s_and_not1_saveexec_b32 s0, s0
; %bb.133:
	s_delay_alu instid0(VALU_DEP_1)
	v_bfe_u32 v4, v5, 23, 1
; %bb.134:
	s_wait_alu 0xfffe
	s_or_b32 exec_lo, exec_lo, s0
	v_lshrrev_b32_e32 v5, 20, v5
	s_delay_alu instid0(VALU_DEP_2) | instskip(SKIP_3) | instid1(VALU_DEP_2)
	v_cmp_gt_i32_e32 vcc_lo, 16, v4
	v_min_i32_e32 v6, 15, v4
	v_lshrrev_b32_e32 v0, 24, v0
	s_wait_alu 0xfffd
	v_dual_cndmask_b32 v5, 7, v5 :: v_dual_lshlrev_b32 v6, 3, v6
	s_delay_alu instid0(VALU_DEP_2) | instskip(NEXT) | instid1(VALU_DEP_2)
	v_and_b32_e32 v0, 0x80, v0
	v_or_b32_e32 v4, v4, v5
	s_delay_alu instid0(VALU_DEP_3) | instskip(NEXT) | instid1(VALU_DEP_2)
	v_and_b32_e32 v6, 0xf8, v6
	v_cmp_ne_u32_e32 vcc_lo, 0, v4
	v_and_b32_e32 v7, 7, v5
	s_delay_alu instid0(VALU_DEP_1) | instskip(SKIP_1) | instid1(VALU_DEP_1)
	v_or3_b32 v0, v6, v0, v7
	s_wait_alu 0xfffd
	v_cndmask_b32_e32 v4, 0, v0, vcc_lo
.LBB4_135:
	s_wait_alu 0xfffe
	s_or_b32 exec_lo, exec_lo, s6
.LBB4_136:
	s_wait_alu 0xfffe
	s_or_b32 exec_lo, exec_lo, s2
	v_and_b32_e32 v0, 0x7f800000, v1
	s_delay_alu instid0(VALU_DEP_1)
	v_cmp_ne_u32_e32 vcc_lo, 0x7f800000, v0
	v_mov_b32_e32 v0, 0x8000
	s_and_saveexec_b32 s2, vcc_lo
	s_cbranch_execz .LBB4_144
; %bb.137:
	v_mov_b32_e32 v0, 0
	s_mov_b32 s6, exec_lo
	v_cmpx_ne_u32_e32 0, v1
	s_cbranch_execz .LBB4_143
; %bb.138:
	v_bfe_u32 v0, v1, 23, 8
	s_delay_alu instid0(VALU_DEP_1) | instskip(SKIP_2) | instid1(VALU_DEP_2)
	v_sub_nc_u32_e32 v6, 0x78, v0
	v_cmp_gt_u32_e32 vcc_lo, 0x79, v0
	s_wait_alu 0xfffd
	v_dual_cndmask_b32 v6, 0, v6 :: v_dual_and_b32 v5, 0x7fffff, v1
	s_delay_alu instid0(VALU_DEP_1) | instskip(SKIP_2) | instid1(VALU_DEP_2)
	v_or_b32_e32 v7, 0x800000, v5
	v_cmp_eq_u32_e32 vcc_lo, 0, v0
	s_wait_alu 0xfffd
	v_dual_cndmask_b32 v5, v7, v5 :: v_dual_add_nc_u32 v0, 0xffffff89, v0
	v_cndmask_b32_e64 v6, v6, 0x77, vcc_lo
	s_delay_alu instid0(VALU_DEP_2) | instskip(NEXT) | instid1(VALU_DEP_2)
	v_cndmask_b32_e64 v0, v0, 0xffffff8a, vcc_lo
	v_lshrrev_b32_e32 v80, v6, v5
	v_lshl_add_u32 v7, 0x100000, v6, -1
	v_lshlrev_b32_e64 v82, v6, 0x80000
	s_delay_alu instid0(VALU_DEP_4) | instskip(NEXT) | instid1(VALU_DEP_4)
	v_add_nc_u32_e32 v6, v6, v0
	v_bfe_u32 v81, v80, 20, 1
	s_delay_alu instid0(VALU_DEP_4) | instskip(NEXT) | instid1(VALU_DEP_2)
	v_and_b32_e32 v5, v7, v5
	v_add_nc_u32_e32 v7, -1, v81
	s_delay_alu instid0(VALU_DEP_2) | instskip(SKIP_1) | instid1(VALU_DEP_1)
	v_cmp_eq_u32_e64 s0, v5, v82
	s_wait_alu 0xf1ff
	v_cndmask_b32_e64 v5, 0, v7, s0
	v_lshrrev_b32_e32 v7, 23, v80
	s_mov_b32 s0, exec_lo
	s_delay_alu instid0(VALU_DEP_2) | instskip(NEXT) | instid1(VALU_DEP_2)
	v_add_nc_u32_e32 v5, v5, v80
	v_xor_b32_e32 v7, 1, v7
	s_delay_alu instid0(VALU_DEP_2) | instskip(NEXT) | instid1(VALU_DEP_1)
	v_and_b32_e32 v0, 0xfffff, v5
	v_add_nc_u32_e32 v5, v0, v80
                                        ; implicit-def: $vgpr0
	s_delay_alu instid0(VALU_DEP_3)
	v_cmpx_ne_u32_e64 v6, v7
	s_wait_alu 0xfffe
	s_xor_b32 s0, exec_lo, s0
; %bb.139:
	s_delay_alu instid0(VALU_DEP_2) | instskip(SKIP_3) | instid1(VALU_DEP_2)
	v_cmp_lt_u32_e32 vcc_lo, 0xffffff, v5
	v_sub_nc_u32_e32 v0, v6, v7
	s_wait_alu 0xfffd
	v_cndmask_b32_e64 v6, 0, 1, vcc_lo
	v_add_co_ci_u32_e64 v0, null, 0, v0, vcc_lo
	s_delay_alu instid0(VALU_DEP_2)
	v_lshrrev_b32_e32 v5, v6, v5
; %bb.140:
	s_wait_alu 0xfffe
	s_and_not1_saveexec_b32 s0, s0
; %bb.141:
	s_delay_alu instid0(VALU_DEP_1)
	v_bfe_u32 v0, v5, 23, 1
; %bb.142:
	s_wait_alu 0xfffe
	s_or_b32 exec_lo, exec_lo, s0
	v_lshrrev_b32_e32 v5, 20, v5
	s_delay_alu instid0(VALU_DEP_2) | instskip(SKIP_3) | instid1(VALU_DEP_3)
	v_min_i32_e32 v6, 15, v0
	v_cmp_gt_i32_e32 vcc_lo, 16, v0
	v_lshrrev_b32_e32 v1, 24, v1
	s_wait_alu 0xfffd
	v_dual_cndmask_b32 v5, 7, v5 :: v_dual_lshlrev_b32 v6, 3, v6
	s_delay_alu instid0(VALU_DEP_2) | instskip(NEXT) | instid1(VALU_DEP_2)
	v_and_b32_e32 v1, 0x80, v1
	v_and_b32_e32 v6, 0xf8, v6
	s_delay_alu instid0(VALU_DEP_3) | instskip(SKIP_1) | instid1(VALU_DEP_2)
	v_and_b32_e32 v7, 7, v5
	v_or_b32_e32 v0, v0, v5
	v_or3_b32 v1, v1, v6, v7
	s_delay_alu instid0(VALU_DEP_2) | instskip(NEXT) | instid1(VALU_DEP_2)
	v_cmp_ne_u32_e32 vcc_lo, 0, v0
	v_lshlrev_b32_e32 v1, 8, v1
	s_wait_alu 0xfffd
	s_delay_alu instid0(VALU_DEP_1)
	v_cndmask_b32_e32 v0, 0, v1, vcc_lo
.LBB4_143:
	s_wait_alu 0xfffe
	s_or_b32 exec_lo, exec_lo, s6
.LBB4_144:
	s_wait_alu 0xfffe
	s_or_b32 exec_lo, exec_lo, s2
	v_and_b32_e32 v1, 0x7f800000, v2
	v_mov_b32_e32 v85, 0x800000
	s_mov_b32 s2, exec_lo
	s_delay_alu instid0(VALU_DEP_2)
	v_cmpx_ne_u32_e32 0x7f800000, v1
	s_cbranch_execz .LBB4_152
; %bb.145:
	v_mov_b32_e32 v85, 0
	s_mov_b32 s6, exec_lo
	v_cmpx_ne_u32_e32 0, v2
	s_cbranch_execz .LBB4_151
; %bb.146:
	v_bfe_u32 v1, v2, 23, 8
	v_and_b32_e32 v5, 0x7fffff, v2
	s_delay_alu instid0(VALU_DEP_2) | instskip(SKIP_1) | instid1(VALU_DEP_3)
	v_sub_nc_u32_e32 v6, 0x78, v1
	v_cmp_gt_u32_e32 vcc_lo, 0x79, v1
	v_or_b32_e32 v7, 0x800000, v5
	s_wait_alu 0xfffd
	s_delay_alu instid0(VALU_DEP_3)
	v_cndmask_b32_e32 v6, 0, v6, vcc_lo
	v_cmp_eq_u32_e32 vcc_lo, 0, v1
	v_add_nc_u32_e32 v1, 0xffffff89, v1
	s_wait_alu 0xfffd
	v_cndmask_b32_e32 v5, v7, v5, vcc_lo
	v_cndmask_b32_e64 v6, v6, 0x77, vcc_lo
	s_delay_alu instid0(VALU_DEP_3) | instskip(NEXT) | instid1(VALU_DEP_2)
	v_cndmask_b32_e64 v1, v1, 0xffffff8a, vcc_lo
	v_lshrrev_b32_e32 v80, v6, v5
	v_lshl_add_u32 v7, 0x100000, v6, -1
	v_lshlrev_b32_e64 v82, v6, 0x80000
	s_delay_alu instid0(VALU_DEP_4) | instskip(NEXT) | instid1(VALU_DEP_4)
	v_add_nc_u32_e32 v6, v6, v1
	v_bfe_u32 v81, v80, 20, 1
	s_delay_alu instid0(VALU_DEP_4) | instskip(NEXT) | instid1(VALU_DEP_2)
	v_and_b32_e32 v5, v7, v5
	v_add_nc_u32_e32 v7, -1, v81
	s_delay_alu instid0(VALU_DEP_2) | instskip(SKIP_1) | instid1(VALU_DEP_1)
	v_cmp_eq_u32_e64 s0, v5, v82
	s_wait_alu 0xf1ff
	v_cndmask_b32_e64 v5, 0, v7, s0
	v_lshrrev_b32_e32 v7, 23, v80
	s_mov_b32 s0, exec_lo
	s_delay_alu instid0(VALU_DEP_2) | instskip(NEXT) | instid1(VALU_DEP_2)
	v_add_nc_u32_e32 v5, v5, v80
	v_xor_b32_e32 v7, 1, v7
	s_delay_alu instid0(VALU_DEP_2) | instskip(NEXT) | instid1(VALU_DEP_1)
	v_and_b32_e32 v1, 0xfffff, v5
	v_add_nc_u32_e32 v5, v1, v80
                                        ; implicit-def: $vgpr1
	s_delay_alu instid0(VALU_DEP_3)
	v_cmpx_ne_u32_e64 v6, v7
	s_wait_alu 0xfffe
	s_xor_b32 s0, exec_lo, s0
; %bb.147:
	s_delay_alu instid0(VALU_DEP_2) | instskip(SKIP_3) | instid1(VALU_DEP_2)
	v_cmp_lt_u32_e32 vcc_lo, 0xffffff, v5
	v_sub_nc_u32_e32 v1, v6, v7
	s_wait_alu 0xfffd
	v_cndmask_b32_e64 v6, 0, 1, vcc_lo
	v_add_co_ci_u32_e64 v1, null, 0, v1, vcc_lo
	s_delay_alu instid0(VALU_DEP_2)
	v_lshrrev_b32_e32 v5, v6, v5
; %bb.148:
	s_wait_alu 0xfffe
	s_and_not1_saveexec_b32 s0, s0
; %bb.149:
	s_delay_alu instid0(VALU_DEP_1)
	v_bfe_u32 v1, v5, 23, 1
; %bb.150:
	s_wait_alu 0xfffe
	s_or_b32 exec_lo, exec_lo, s0
	v_lshrrev_b32_e32 v5, 20, v5
	s_delay_alu instid0(VALU_DEP_2) | instskip(SKIP_3) | instid1(VALU_DEP_3)
	v_min_i32_e32 v6, 15, v1
	v_cmp_gt_i32_e32 vcc_lo, 16, v1
	v_lshrrev_b32_e32 v2, 24, v2
	s_wait_alu 0xfffd
	v_dual_cndmask_b32 v5, 7, v5 :: v_dual_lshlrev_b32 v6, 3, v6
	s_delay_alu instid0(VALU_DEP_2) | instskip(NEXT) | instid1(VALU_DEP_2)
	v_and_b32_e32 v2, 0x80, v2
	v_and_b32_e32 v6, 0xf8, v6
	s_delay_alu instid0(VALU_DEP_3) | instskip(SKIP_1) | instid1(VALU_DEP_2)
	v_and_b32_e32 v7, 7, v5
	v_or_b32_e32 v1, v1, v5
	v_or3_b32 v2, v2, v6, v7
	s_delay_alu instid0(VALU_DEP_2) | instskip(NEXT) | instid1(VALU_DEP_2)
	v_cmp_ne_u32_e32 vcc_lo, 0, v1
	v_lshlrev_b32_e32 v2, 16, v2
	s_wait_alu 0xfffd
	s_delay_alu instid0(VALU_DEP_1)
	v_cndmask_b32_e32 v85, 0, v2, vcc_lo
.LBB4_151:
	s_wait_alu 0xfffe
	s_or_b32 exec_lo, exec_lo, s6
.LBB4_152:
	s_wait_alu 0xfffe
	s_or_b32 exec_lo, exec_lo, s2
	v_and_b32_e32 v1, 0x7f800000, v3
	v_add_nc_u32_e32 v86, 64, v84
	v_bfrev_b32_e32 v87, 1
	s_mov_b32 s2, exec_lo
	s_delay_alu instid0(VALU_DEP_3)
	v_cmpx_ne_u32_e32 0x7f800000, v1
	s_cbranch_execz .LBB4_160
; %bb.153:
	v_mov_b32_e32 v87, 0
	s_mov_b32 s6, exec_lo
	v_cmpx_ne_u32_e32 0, v3
	s_cbranch_execz .LBB4_159
; %bb.154:
	v_bfe_u32 v1, v3, 23, 8
	s_delay_alu instid0(VALU_DEP_1) | instskip(SKIP_2) | instid1(VALU_DEP_2)
	v_sub_nc_u32_e32 v5, 0x78, v1
	v_cmp_gt_u32_e32 vcc_lo, 0x79, v1
	s_wait_alu 0xfffd
	v_dual_cndmask_b32 v5, 0, v5 :: v_dual_and_b32 v2, 0x7fffff, v3
	s_delay_alu instid0(VALU_DEP_1) | instskip(SKIP_2) | instid1(VALU_DEP_2)
	v_or_b32_e32 v6, 0x800000, v2
	v_cmp_eq_u32_e32 vcc_lo, 0, v1
	s_wait_alu 0xfffd
	v_dual_cndmask_b32 v2, v6, v2 :: v_dual_add_nc_u32 v1, 0xffffff89, v1
	v_cndmask_b32_e64 v5, v5, 0x77, vcc_lo
	s_delay_alu instid0(VALU_DEP_2) | instskip(NEXT) | instid1(VALU_DEP_2)
	v_cndmask_b32_e64 v1, v1, 0xffffff8a, vcc_lo
	v_lshrrev_b32_e32 v7, v5, v2
	v_lshl_add_u32 v6, 0x100000, v5, -1
	v_lshlrev_b32_e64 v81, v5, 0x80000
	s_delay_alu instid0(VALU_DEP_4) | instskip(NEXT) | instid1(VALU_DEP_4)
	v_add_nc_u32_e32 v5, v5, v1
	v_bfe_u32 v80, v7, 20, 1
	s_delay_alu instid0(VALU_DEP_4) | instskip(NEXT) | instid1(VALU_DEP_2)
	v_and_b32_e32 v2, v6, v2
	v_add_nc_u32_e32 v6, -1, v80
	s_delay_alu instid0(VALU_DEP_2) | instskip(SKIP_1) | instid1(VALU_DEP_1)
	v_cmp_eq_u32_e64 s0, v2, v81
	s_wait_alu 0xf1ff
	v_cndmask_b32_e64 v2, 0, v6, s0
	v_lshrrev_b32_e32 v6, 23, v7
	s_mov_b32 s0, exec_lo
	s_delay_alu instid0(VALU_DEP_2) | instskip(NEXT) | instid1(VALU_DEP_2)
	v_add_nc_u32_e32 v2, v2, v7
	v_xor_b32_e32 v6, 1, v6
	s_delay_alu instid0(VALU_DEP_2) | instskip(NEXT) | instid1(VALU_DEP_1)
	v_and_b32_e32 v1, 0xfffff, v2
	v_add_nc_u32_e32 v2, v1, v7
                                        ; implicit-def: $vgpr1
	s_delay_alu instid0(VALU_DEP_3)
	v_cmpx_ne_u32_e64 v5, v6
	s_wait_alu 0xfffe
	s_xor_b32 s0, exec_lo, s0
; %bb.155:
	s_delay_alu instid0(VALU_DEP_2) | instskip(SKIP_3) | instid1(VALU_DEP_2)
	v_cmp_lt_u32_e32 vcc_lo, 0xffffff, v2
	v_sub_nc_u32_e32 v1, v5, v6
	s_wait_alu 0xfffd
	v_cndmask_b32_e64 v5, 0, 1, vcc_lo
	v_add_co_ci_u32_e64 v1, null, 0, v1, vcc_lo
	s_delay_alu instid0(VALU_DEP_2)
	v_lshrrev_b32_e32 v2, v5, v2
; %bb.156:
	s_wait_alu 0xfffe
	s_and_not1_saveexec_b32 s0, s0
; %bb.157:
	s_delay_alu instid0(VALU_DEP_1)
	v_bfe_u32 v1, v2, 23, 1
; %bb.158:
	s_wait_alu 0xfffe
	s_or_b32 exec_lo, exec_lo, s0
	v_lshrrev_b32_e32 v2, 20, v2
	s_delay_alu instid0(VALU_DEP_2) | instskip(SKIP_3) | instid1(VALU_DEP_2)
	v_cmp_gt_i32_e32 vcc_lo, 16, v1
	v_lshrrev_b32_e32 v3, 24, v3
	v_min_i32_e32 v5, 15, v1
	s_wait_alu 0xfffd
	v_dual_cndmask_b32 v2, 7, v2 :: v_dual_and_b32 v3, 0x80, v3
	s_delay_alu instid0(VALU_DEP_2) | instskip(NEXT) | instid1(VALU_DEP_2)
	v_lshlrev_b32_e32 v5, 3, v5
	v_and_b32_e32 v6, 7, v2
	v_or_b32_e32 v1, v1, v2
	s_delay_alu instid0(VALU_DEP_2) | instskip(NEXT) | instid1(VALU_DEP_2)
	v_or3_b32 v3, v3, v5, v6
	v_cmp_ne_u32_e32 vcc_lo, 0, v1
	s_delay_alu instid0(VALU_DEP_2) | instskip(SKIP_1) | instid1(VALU_DEP_1)
	v_lshlrev_b32_e32 v2, 24, v3
	s_wait_alu 0xfffd
	v_cndmask_b32_e32 v87, 0, v2, vcc_lo
.LBB4_159:
	s_wait_alu 0xfffe
	s_or_b32 exec_lo, exec_lo, s6
.LBB4_160:
	s_wait_alu 0xfffe
	s_or_b32 exec_lo, exec_lo, s2
	ds_load_b128 v[80:83], v92 offset:16
	v_or_b32_e32 v88, v0, v4
	s_lshl_b32 s2, s3, 5
	v_wmma_f32_16x16x16_fp8_fp8 v[0:7], v[76:77], v[16:17], 0
	s_wait_alu 0xfffe
	v_dual_mov_b32 v77, 0x80 :: v_dual_add_nc_u32 v76, s2, v86
	v_or3_b32 v85, v85, v88, v87
	s_mov_b32 s6, s1
	s_mov_b32 s3, exec_lo
	buffer_store_b32 v85, v76, s[4:7], null offen
	s_wait_dscnt 0x0
	v_and_b32_e32 v89, 0x7f800000, v80
	s_delay_alu instid0(VALU_DEP_1)
	v_cmpx_ne_u32_e32 0x7f800000, v89
	s_cbranch_execz .LBB4_168
; %bb.161:
	v_mov_b32_e32 v77, 0
	s_mov_b32 s6, exec_lo
	v_cmpx_ne_u32_e32 0, v80
	s_cbranch_execz .LBB4_167
; %bb.162:
	v_bfe_u32 v77, v80, 23, 8
	s_delay_alu instid0(VALU_DEP_1) | instskip(SKIP_2) | instid1(VALU_DEP_2)
	v_sub_nc_u32_e32 v86, 0x78, v77
	v_cmp_gt_u32_e32 vcc_lo, 0x79, v77
	s_wait_alu 0xfffd
	v_dual_cndmask_b32 v86, 0, v86 :: v_dual_and_b32 v85, 0x7fffff, v80
	s_delay_alu instid0(VALU_DEP_1)
	v_or_b32_e32 v87, 0x800000, v85
	v_cmp_eq_u32_e32 vcc_lo, 0, v77
	v_add_nc_u32_e32 v77, 0xffffff89, v77
	s_wait_alu 0xfffd
	v_cndmask_b32_e64 v86, v86, 0x77, vcc_lo
	v_cndmask_b32_e32 v85, v87, v85, vcc_lo
	s_delay_alu instid0(VALU_DEP_3) | instskip(NEXT) | instid1(VALU_DEP_3)
	v_cndmask_b32_e64 v77, v77, 0xffffff8a, vcc_lo
	v_lshl_add_u32 v87, 0x100000, v86, -1
	s_delay_alu instid0(VALU_DEP_3) | instskip(SKIP_1) | instid1(VALU_DEP_4)
	v_lshrrev_b32_e32 v88, v86, v85
	v_lshlrev_b32_e64 v90, v86, 0x80000
	v_add_nc_u32_e32 v86, v86, v77
	s_delay_alu instid0(VALU_DEP_4) | instskip(NEXT) | instid1(VALU_DEP_4)
	v_and_b32_e32 v85, v87, v85
	v_bfe_u32 v89, v88, 20, 1
	s_delay_alu instid0(VALU_DEP_2) | instskip(NEXT) | instid1(VALU_DEP_2)
	v_cmp_eq_u32_e64 s0, v85, v90
	v_add_nc_u32_e32 v87, -1, v89
	s_wait_alu 0xf1ff
	s_delay_alu instid0(VALU_DEP_1) | instskip(SKIP_2) | instid1(VALU_DEP_2)
	v_cndmask_b32_e64 v85, 0, v87, s0
	v_lshrrev_b32_e32 v87, 23, v88
	s_mov_b32 s0, exec_lo
	v_add_nc_u32_e32 v85, v85, v88
	s_delay_alu instid0(VALU_DEP_2) | instskip(NEXT) | instid1(VALU_DEP_2)
	v_xor_b32_e32 v87, 1, v87
	v_and_b32_e32 v77, 0xfffff, v85
	s_delay_alu instid0(VALU_DEP_1) | instskip(NEXT) | instid1(VALU_DEP_3)
	v_add_nc_u32_e32 v85, v77, v88
                                        ; implicit-def: $vgpr77
	v_cmpx_ne_u32_e64 v86, v87
	s_wait_alu 0xfffe
	s_xor_b32 s0, exec_lo, s0
; %bb.163:
	s_delay_alu instid0(VALU_DEP_2) | instskip(SKIP_3) | instid1(VALU_DEP_2)
	v_cmp_lt_u32_e32 vcc_lo, 0xffffff, v85
	v_sub_nc_u32_e32 v77, v86, v87
	s_wait_alu 0xfffd
	v_cndmask_b32_e64 v86, 0, 1, vcc_lo
	v_add_co_ci_u32_e64 v77, null, 0, v77, vcc_lo
	s_delay_alu instid0(VALU_DEP_2)
	v_lshrrev_b32_e32 v85, v86, v85
; %bb.164:
	s_wait_alu 0xfffe
	s_and_not1_saveexec_b32 s0, s0
; %bb.165:
	s_delay_alu instid0(VALU_DEP_1)
	v_bfe_u32 v77, v85, 23, 1
; %bb.166:
	s_wait_alu 0xfffe
	s_or_b32 exec_lo, exec_lo, s0
	v_lshrrev_b32_e32 v85, 20, v85
	s_delay_alu instid0(VALU_DEP_2) | instskip(SKIP_3) | instid1(VALU_DEP_2)
	v_cmp_gt_i32_e32 vcc_lo, 16, v77
	v_min_i32_e32 v86, 15, v77
	v_lshrrev_b32_e32 v80, 24, v80
	s_wait_alu 0xfffd
	v_dual_cndmask_b32 v85, 7, v85 :: v_dual_lshlrev_b32 v86, 3, v86
	s_delay_alu instid0(VALU_DEP_2) | instskip(NEXT) | instid1(VALU_DEP_2)
	v_and_b32_e32 v80, 0x80, v80
	v_or_b32_e32 v77, v77, v85
	v_and_b32_e32 v87, 7, v85
	s_delay_alu instid0(VALU_DEP_2) | instskip(SKIP_1) | instid1(VALU_DEP_1)
	v_cmp_ne_u32_e32 vcc_lo, 0, v77
	v_and_b32_e32 v86, 0xf8, v86
	v_or3_b32 v80, v86, v80, v87
	s_wait_alu 0xfffd
	s_delay_alu instid0(VALU_DEP_1)
	v_cndmask_b32_e32 v77, 0, v80, vcc_lo
.LBB4_167:
	s_wait_alu 0xfffe
	s_or_b32 exec_lo, exec_lo, s6
.LBB4_168:
	s_delay_alu instid0(SALU_CYCLE_1) | instskip(SKIP_4) | instid1(VALU_DEP_3)
	s_or_b32 exec_lo, exec_lo, s3
	v_and_b32_e32 v80, 0x7f800000, v81
	v_wmma_f32_16x16x16_fp8_fp8 v[0:7], v[78:79], v[18:19], v[0:7]
	v_mov_b32_e32 v78, 0x8000
	s_mov_b32 s3, exec_lo
	v_cmpx_ne_u32_e32 0x7f800000, v80
	s_cbranch_execz .LBB4_176
; %bb.169:
	v_mov_b32_e32 v78, 0
	s_mov_b32 s6, exec_lo
	v_cmpx_ne_u32_e32 0, v81
	s_cbranch_execz .LBB4_175
; %bb.170:
	v_bfe_u32 v78, v81, 23, 8
	s_delay_alu instid0(VALU_DEP_1) | instskip(SKIP_2) | instid1(VALU_DEP_2)
	v_sub_nc_u32_e32 v80, 0x78, v78
	v_cmp_gt_u32_e32 vcc_lo, 0x79, v78
	s_wait_alu 0xfffd
	v_dual_cndmask_b32 v80, 0, v80 :: v_dual_and_b32 v79, 0x7fffff, v81
	s_delay_alu instid0(VALU_DEP_1) | instskip(SKIP_2) | instid1(VALU_DEP_2)
	v_or_b32_e32 v85, 0x800000, v79
	v_cmp_eq_u32_e32 vcc_lo, 0, v78
	s_wait_alu 0xfffd
	v_dual_cndmask_b32 v79, v85, v79 :: v_dual_add_nc_u32 v78, 0xffffff89, v78
	v_cndmask_b32_e64 v80, v80, 0x77, vcc_lo
	s_delay_alu instid0(VALU_DEP_2) | instskip(NEXT) | instid1(VALU_DEP_2)
	v_cndmask_b32_e64 v78, v78, 0xffffff8a, vcc_lo
	v_lshrrev_b32_e32 v86, v80, v79
	v_lshl_add_u32 v85, 0x100000, v80, -1
	v_lshlrev_b32_e64 v88, v80, 0x80000
	s_delay_alu instid0(VALU_DEP_4) | instskip(NEXT) | instid1(VALU_DEP_4)
	v_add_nc_u32_e32 v80, v80, v78
	v_bfe_u32 v87, v86, 20, 1
	s_delay_alu instid0(VALU_DEP_4) | instskip(NEXT) | instid1(VALU_DEP_2)
	v_and_b32_e32 v79, v85, v79
	v_add_nc_u32_e32 v85, -1, v87
	s_delay_alu instid0(VALU_DEP_2) | instskip(SKIP_1) | instid1(VALU_DEP_1)
	v_cmp_eq_u32_e64 s0, v79, v88
	s_wait_alu 0xf1ff
	v_cndmask_b32_e64 v79, 0, v85, s0
	v_lshrrev_b32_e32 v85, 23, v86
	s_mov_b32 s0, exec_lo
	s_delay_alu instid0(VALU_DEP_2) | instskip(NEXT) | instid1(VALU_DEP_2)
	v_add_nc_u32_e32 v79, v79, v86
	v_xor_b32_e32 v85, 1, v85
	s_delay_alu instid0(VALU_DEP_2) | instskip(NEXT) | instid1(VALU_DEP_1)
	v_and_b32_e32 v78, 0xfffff, v79
	v_add_nc_u32_e32 v79, v78, v86
                                        ; implicit-def: $vgpr78
	s_delay_alu instid0(VALU_DEP_3)
	v_cmpx_ne_u32_e64 v80, v85
	s_wait_alu 0xfffe
	s_xor_b32 s0, exec_lo, s0
; %bb.171:
	s_delay_alu instid0(VALU_DEP_2) | instskip(SKIP_3) | instid1(VALU_DEP_2)
	v_cmp_lt_u32_e32 vcc_lo, 0xffffff, v79
	v_sub_nc_u32_e32 v78, v80, v85
	s_wait_alu 0xfffd
	v_cndmask_b32_e64 v80, 0, 1, vcc_lo
	v_add_co_ci_u32_e64 v78, null, 0, v78, vcc_lo
	s_delay_alu instid0(VALU_DEP_2)
	v_lshrrev_b32_e32 v79, v80, v79
; %bb.172:
	s_wait_alu 0xfffe
	s_and_not1_saveexec_b32 s0, s0
; %bb.173:
	s_delay_alu instid0(VALU_DEP_1)
	v_bfe_u32 v78, v79, 23, 1
; %bb.174:
	s_wait_alu 0xfffe
	s_or_b32 exec_lo, exec_lo, s0
	v_lshrrev_b32_e32 v79, 20, v79
	s_delay_alu instid0(VALU_DEP_2) | instskip(SKIP_3) | instid1(VALU_DEP_2)
	v_cmp_gt_i32_e32 vcc_lo, 16, v78
	v_min_i32_e32 v80, 15, v78
	v_lshrrev_b32_e32 v81, 24, v81
	s_wait_alu 0xfffd
	v_dual_cndmask_b32 v79, 7, v79 :: v_dual_lshlrev_b32 v80, 3, v80
	s_delay_alu instid0(VALU_DEP_1) | instskip(SKIP_1) | instid1(VALU_DEP_3)
	v_or_b32_e32 v78, v78, v79
	v_and_b32_e32 v85, 7, v79
	v_and_b32_e32 v80, 0xf8, v80
	s_delay_alu instid0(VALU_DEP_3) | instskip(SKIP_1) | instid1(VALU_DEP_1)
	v_cmp_ne_u32_e32 vcc_lo, 0, v78
	v_and_b32_e32 v81, 0x80, v81
	v_or3_b32 v80, v81, v80, v85
	s_delay_alu instid0(VALU_DEP_1) | instskip(SKIP_1) | instid1(VALU_DEP_1)
	v_lshlrev_b32_e32 v79, 8, v80
	s_wait_alu 0xfffd
	v_cndmask_b32_e32 v78, 0, v79, vcc_lo
.LBB4_175:
	s_wait_alu 0xfffe
	s_or_b32 exec_lo, exec_lo, s6
.LBB4_176:
	s_wait_alu 0xfffe
	s_or_b32 exec_lo, exec_lo, s3
	v_and_b32_e32 v79, 0x7f800000, v82
	v_wmma_f32_16x16x16_fp8_fp8 v[0:7], v[72:73], v[8:9], v[0:7]
	v_mov_b32_e32 v72, 0x800000
	s_mov_b32 s3, exec_lo
	s_delay_alu instid0(VALU_DEP_3)
	v_cmpx_ne_u32_e32 0x7f800000, v79
	s_cbranch_execz .LBB4_184
; %bb.177:
	v_mov_b32_e32 v72, 0
	s_mov_b32 s6, exec_lo
	v_cmpx_ne_u32_e32 0, v82
	s_cbranch_execz .LBB4_183
; %bb.178:
	v_bfe_u32 v72, v82, 23, 8
	v_and_b32_e32 v73, 0x7fffff, v82
	s_delay_alu instid0(VALU_DEP_2) | instskip(SKIP_1) | instid1(VALU_DEP_3)
	v_sub_nc_u32_e32 v79, 0x78, v72
	v_cmp_gt_u32_e32 vcc_lo, 0x79, v72
	v_or_b32_e32 v80, 0x800000, v73
	s_wait_alu 0xfffd
	s_delay_alu instid0(VALU_DEP_3) | instskip(SKIP_3) | instid1(VALU_DEP_3)
	v_cndmask_b32_e32 v79, 0, v79, vcc_lo
	v_cmp_eq_u32_e32 vcc_lo, 0, v72
	s_wait_alu 0xfffd
	v_dual_cndmask_b32 v73, v80, v73 :: v_dual_add_nc_u32 v72, 0xffffff89, v72
	v_cndmask_b32_e64 v79, v79, 0x77, vcc_lo
	s_delay_alu instid0(VALU_DEP_2) | instskip(NEXT) | instid1(VALU_DEP_2)
	v_cndmask_b32_e64 v72, v72, 0xffffff8a, vcc_lo
	v_lshrrev_b32_e32 v81, v79, v73
	v_lshl_add_u32 v80, 0x100000, v79, -1
	v_lshlrev_b32_e64 v86, v79, 0x80000
	s_delay_alu instid0(VALU_DEP_4) | instskip(NEXT) | instid1(VALU_DEP_4)
	v_add_nc_u32_e32 v79, v79, v72
	v_bfe_u32 v85, v81, 20, 1
	s_delay_alu instid0(VALU_DEP_4) | instskip(NEXT) | instid1(VALU_DEP_2)
	v_and_b32_e32 v73, v80, v73
	v_add_nc_u32_e32 v80, -1, v85
	s_delay_alu instid0(VALU_DEP_2) | instskip(SKIP_1) | instid1(VALU_DEP_1)
	v_cmp_eq_u32_e64 s0, v73, v86
	s_wait_alu 0xf1ff
	v_cndmask_b32_e64 v73, 0, v80, s0
	v_lshrrev_b32_e32 v80, 23, v81
	s_mov_b32 s0, exec_lo
	s_delay_alu instid0(VALU_DEP_2) | instskip(NEXT) | instid1(VALU_DEP_2)
	v_add_nc_u32_e32 v73, v73, v81
	v_xor_b32_e32 v80, 1, v80
	s_delay_alu instid0(VALU_DEP_2) | instskip(NEXT) | instid1(VALU_DEP_1)
	v_and_b32_e32 v72, 0xfffff, v73
	v_add_nc_u32_e32 v73, v72, v81
                                        ; implicit-def: $vgpr72
	s_delay_alu instid0(VALU_DEP_3)
	v_cmpx_ne_u32_e64 v79, v80
	s_wait_alu 0xfffe
	s_xor_b32 s0, exec_lo, s0
; %bb.179:
	s_delay_alu instid0(VALU_DEP_2) | instskip(SKIP_3) | instid1(VALU_DEP_2)
	v_cmp_lt_u32_e32 vcc_lo, 0xffffff, v73
	v_sub_nc_u32_e32 v72, v79, v80
	s_wait_alu 0xfffd
	v_cndmask_b32_e64 v79, 0, 1, vcc_lo
	v_add_co_ci_u32_e64 v72, null, 0, v72, vcc_lo
	s_delay_alu instid0(VALU_DEP_2)
	v_lshrrev_b32_e32 v73, v79, v73
; %bb.180:
	s_wait_alu 0xfffe
	s_and_not1_saveexec_b32 s0, s0
; %bb.181:
	s_delay_alu instid0(VALU_DEP_1)
	v_bfe_u32 v72, v73, 23, 1
; %bb.182:
	s_wait_alu 0xfffe
	s_or_b32 exec_lo, exec_lo, s0
	v_lshrrev_b32_e32 v73, 20, v73
	s_delay_alu instid0(VALU_DEP_2) | instskip(SKIP_3) | instid1(VALU_DEP_2)
	v_cmp_gt_i32_e32 vcc_lo, 16, v72
	v_lshrrev_b32_e32 v80, 24, v82
	v_min_i32_e32 v79, 15, v72
	s_wait_alu 0xfffd
	v_dual_cndmask_b32 v73, 7, v73 :: v_dual_and_b32 v80, 0x80, v80
	s_delay_alu instid0(VALU_DEP_1) | instskip(SKIP_1) | instid1(VALU_DEP_2)
	v_or_b32_e32 v72, v72, v73
	v_and_b32_e32 v81, 7, v73
	v_cmp_ne_u32_e32 vcc_lo, 0, v72
	v_lshlrev_b32_e32 v79, 3, v79
	s_delay_alu instid0(VALU_DEP_1) | instskip(NEXT) | instid1(VALU_DEP_1)
	v_and_b32_e32 v79, 0xf8, v79
	v_or3_b32 v79, v80, v79, v81
	s_delay_alu instid0(VALU_DEP_1) | instskip(SKIP_1) | instid1(VALU_DEP_1)
	v_lshlrev_b32_e32 v73, 16, v79
	s_wait_alu 0xfffd
	v_cndmask_b32_e32 v72, 0, v73, vcc_lo
.LBB4_183:
	s_wait_alu 0xfffe
	s_or_b32 exec_lo, exec_lo, s6
.LBB4_184:
	s_wait_alu 0xfffe
	s_or_b32 exec_lo, exec_lo, s3
	v_and_b32_e32 v73, 0x7f800000, v83
	v_wmma_f32_16x16x16_fp8_fp8 v[0:7], v[74:75], v[10:11], v[0:7]
	s_delay_alu instid0(VALU_DEP_2)
	v_cmp_ne_u32_e32 vcc_lo, 0x7f800000, v73
	v_bfrev_b32_e32 v73, 1
	s_and_saveexec_b32 s3, vcc_lo
	s_cbranch_execz .LBB4_192
; %bb.185:
	v_mov_b32_e32 v73, 0
	s_mov_b32 s6, exec_lo
	v_cmpx_ne_u32_e32 0, v83
	s_cbranch_execz .LBB4_191
; %bb.186:
	v_bfe_u32 v73, v83, 23, 8
	v_and_b32_e32 v74, 0x7fffff, v83
	s_delay_alu instid0(VALU_DEP_2) | instskip(SKIP_1) | instid1(VALU_DEP_3)
	v_sub_nc_u32_e32 v75, 0x78, v73
	v_cmp_gt_u32_e32 vcc_lo, 0x79, v73
	v_or_b32_e32 v79, 0x800000, v74
	s_wait_alu 0xfffd
	s_delay_alu instid0(VALU_DEP_3) | instskip(SKIP_3) | instid1(VALU_DEP_3)
	v_cndmask_b32_e32 v75, 0, v75, vcc_lo
	v_cmp_eq_u32_e32 vcc_lo, 0, v73
	s_wait_alu 0xfffd
	v_dual_cndmask_b32 v74, v79, v74 :: v_dual_add_nc_u32 v73, 0xffffff89, v73
	v_cndmask_b32_e64 v75, v75, 0x77, vcc_lo
	s_delay_alu instid0(VALU_DEP_2) | instskip(NEXT) | instid1(VALU_DEP_2)
	v_cndmask_b32_e64 v73, v73, 0xffffff8a, vcc_lo
	v_lshrrev_b32_e32 v80, v75, v74
	v_lshl_add_u32 v79, 0x100000, v75, -1
	v_lshlrev_b32_e64 v82, v75, 0x80000
	s_delay_alu instid0(VALU_DEP_4) | instskip(NEXT) | instid1(VALU_DEP_4)
	v_add_nc_u32_e32 v75, v75, v73
	v_bfe_u32 v81, v80, 20, 1
	s_delay_alu instid0(VALU_DEP_4) | instskip(NEXT) | instid1(VALU_DEP_2)
	v_and_b32_e32 v74, v79, v74
	v_add_nc_u32_e32 v79, -1, v81
	s_delay_alu instid0(VALU_DEP_2) | instskip(SKIP_1) | instid1(VALU_DEP_1)
	v_cmp_eq_u32_e64 s0, v74, v82
	s_wait_alu 0xf1ff
	v_cndmask_b32_e64 v74, 0, v79, s0
	v_lshrrev_b32_e32 v79, 23, v80
	s_mov_b32 s0, exec_lo
	s_delay_alu instid0(VALU_DEP_2) | instskip(NEXT) | instid1(VALU_DEP_2)
	v_add_nc_u32_e32 v74, v74, v80
	v_xor_b32_e32 v79, 1, v79
	s_delay_alu instid0(VALU_DEP_2) | instskip(NEXT) | instid1(VALU_DEP_1)
	v_and_b32_e32 v73, 0xfffff, v74
	v_add_nc_u32_e32 v74, v73, v80
                                        ; implicit-def: $vgpr73
	s_delay_alu instid0(VALU_DEP_3)
	v_cmpx_ne_u32_e64 v75, v79
	s_wait_alu 0xfffe
	s_xor_b32 s0, exec_lo, s0
; %bb.187:
	s_delay_alu instid0(VALU_DEP_2) | instskip(SKIP_3) | instid1(VALU_DEP_2)
	v_cmp_lt_u32_e32 vcc_lo, 0xffffff, v74
	v_sub_nc_u32_e32 v73, v75, v79
	s_wait_alu 0xfffd
	v_cndmask_b32_e64 v75, 0, 1, vcc_lo
	v_add_co_ci_u32_e64 v73, null, 0, v73, vcc_lo
	s_delay_alu instid0(VALU_DEP_2)
	v_lshrrev_b32_e32 v74, v75, v74
; %bb.188:
	s_wait_alu 0xfffe
	s_and_not1_saveexec_b32 s0, s0
; %bb.189:
	s_delay_alu instid0(VALU_DEP_1)
	v_bfe_u32 v73, v74, 23, 1
; %bb.190:
	s_wait_alu 0xfffe
	s_or_b32 exec_lo, exec_lo, s0
	v_lshrrev_b32_e32 v74, 20, v74
	s_delay_alu instid0(VALU_DEP_2) | instskip(SKIP_3) | instid1(VALU_DEP_2)
	v_cmp_gt_i32_e32 vcc_lo, 16, v73
	v_lshrrev_b32_e32 v75, 24, v83
	v_min_i32_e32 v79, 15, v73
	s_wait_alu 0xfffd
	v_dual_cndmask_b32 v74, 7, v74 :: v_dual_and_b32 v75, 0x80, v75
	s_delay_alu instid0(VALU_DEP_2) | instskip(NEXT) | instid1(VALU_DEP_2)
	v_lshlrev_b32_e32 v79, 3, v79
	v_and_b32_e32 v80, 7, v74
	v_or_b32_e32 v73, v73, v74
	s_delay_alu instid0(VALU_DEP_2) | instskip(NEXT) | instid1(VALU_DEP_2)
	v_or3_b32 v75, v75, v79, v80
	v_cmp_ne_u32_e32 vcc_lo, 0, v73
	s_delay_alu instid0(VALU_DEP_2) | instskip(SKIP_1) | instid1(VALU_DEP_1)
	v_lshlrev_b32_e32 v74, 24, v75
	s_wait_alu 0xfffd
	v_cndmask_b32_e32 v73, 0, v74, vcc_lo
.LBB4_191:
	s_wait_alu 0xfffe
	s_or_b32 exec_lo, exec_lo, s6
.LBB4_192:
	s_wait_alu 0xfffe
	s_or_b32 exec_lo, exec_lo, s3
	v_or_b32_e32 v74, v78, v77
	s_mov_b32 s6, s1
	s_delay_alu instid0(VALU_DEP_1)
	v_or3_b32 v72, v72, v74, v73
	buffer_store_b32 v72, v76, s[4:7], null offen offset:4
	s_wait_dscnt 0x0
	s_barrier_signal -1
	s_barrier_wait -1
	ds_store_2addr_stride64_b32 v93, v0, v1 offset1:1
	ds_store_2addr_stride64_b32 v93, v2, v3 offset0:2 offset1:3
	ds_store_2addr_stride64_b32 v93, v4, v5 offset0:4 offset1:5
	;; [unrolled: 1-line block ×3, first 2 shown]
	s_wait_dscnt 0x0
	s_barrier_signal -1
	s_barrier_wait -1
	ds_load_b128 v[0:3], v92
	s_wait_dscnt 0x0
	v_and_b32_e32 v4, 0x7f800000, v0
	s_delay_alu instid0(VALU_DEP_1)
	v_cmp_ne_u32_e32 vcc_lo, 0x7f800000, v4
	v_mov_b32_e32 v4, 0x80
	s_and_saveexec_b32 s3, vcc_lo
	s_cbranch_execz .LBB4_200
; %bb.193:
	v_mov_b32_e32 v4, 0
	s_mov_b32 s6, exec_lo
	v_cmpx_ne_u32_e32 0, v0
	s_cbranch_execz .LBB4_199
; %bb.194:
	v_bfe_u32 v4, v0, 23, 8
	s_delay_alu instid0(VALU_DEP_1) | instskip(SKIP_2) | instid1(VALU_DEP_2)
	v_sub_nc_u32_e32 v6, 0x78, v4
	v_cmp_gt_u32_e32 vcc_lo, 0x79, v4
	s_wait_alu 0xfffd
	v_dual_cndmask_b32 v6, 0, v6 :: v_dual_and_b32 v5, 0x7fffff, v0
	s_delay_alu instid0(VALU_DEP_1) | instskip(SKIP_2) | instid1(VALU_DEP_2)
	v_or_b32_e32 v7, 0x800000, v5
	v_cmp_eq_u32_e32 vcc_lo, 0, v4
	s_wait_alu 0xfffd
	v_dual_cndmask_b32 v5, v7, v5 :: v_dual_add_nc_u32 v4, 0xffffff89, v4
	v_cndmask_b32_e64 v6, v6, 0x77, vcc_lo
	s_delay_alu instid0(VALU_DEP_2) | instskip(NEXT) | instid1(VALU_DEP_2)
	v_cndmask_b32_e64 v4, v4, 0xffffff8a, vcc_lo
	v_lshrrev_b32_e32 v72, v6, v5
	v_lshl_add_u32 v7, 0x100000, v6, -1
	v_lshlrev_b32_e64 v74, v6, 0x80000
	s_delay_alu instid0(VALU_DEP_4) | instskip(NEXT) | instid1(VALU_DEP_4)
	v_add_nc_u32_e32 v6, v6, v4
	v_bfe_u32 v73, v72, 20, 1
	s_delay_alu instid0(VALU_DEP_4) | instskip(NEXT) | instid1(VALU_DEP_2)
	v_and_b32_e32 v5, v7, v5
	v_add_nc_u32_e32 v7, -1, v73
	s_delay_alu instid0(VALU_DEP_2) | instskip(SKIP_1) | instid1(VALU_DEP_1)
	v_cmp_eq_u32_e64 s0, v5, v74
	s_wait_alu 0xf1ff
	v_cndmask_b32_e64 v5, 0, v7, s0
	v_lshrrev_b32_e32 v7, 23, v72
	s_mov_b32 s0, exec_lo
	s_delay_alu instid0(VALU_DEP_2) | instskip(NEXT) | instid1(VALU_DEP_2)
	v_add_nc_u32_e32 v5, v5, v72
	v_xor_b32_e32 v7, 1, v7
	s_delay_alu instid0(VALU_DEP_2) | instskip(NEXT) | instid1(VALU_DEP_1)
	v_and_b32_e32 v4, 0xfffff, v5
	v_add_nc_u32_e32 v5, v4, v72
                                        ; implicit-def: $vgpr4
	s_delay_alu instid0(VALU_DEP_3)
	v_cmpx_ne_u32_e64 v6, v7
	s_wait_alu 0xfffe
	s_xor_b32 s0, exec_lo, s0
; %bb.195:
	s_delay_alu instid0(VALU_DEP_2) | instskip(SKIP_3) | instid1(VALU_DEP_2)
	v_cmp_lt_u32_e32 vcc_lo, 0xffffff, v5
	v_sub_nc_u32_e32 v4, v6, v7
	s_wait_alu 0xfffd
	v_cndmask_b32_e64 v6, 0, 1, vcc_lo
	v_add_co_ci_u32_e64 v4, null, 0, v4, vcc_lo
	s_delay_alu instid0(VALU_DEP_2)
	v_lshrrev_b32_e32 v5, v6, v5
; %bb.196:
	s_wait_alu 0xfffe
	s_and_not1_saveexec_b32 s0, s0
; %bb.197:
	s_delay_alu instid0(VALU_DEP_1)
	v_bfe_u32 v4, v5, 23, 1
; %bb.198:
	s_wait_alu 0xfffe
	s_or_b32 exec_lo, exec_lo, s0
	v_lshrrev_b32_e32 v5, 20, v5
	s_delay_alu instid0(VALU_DEP_2) | instskip(SKIP_3) | instid1(VALU_DEP_2)
	v_cmp_gt_i32_e32 vcc_lo, 16, v4
	v_min_i32_e32 v6, 15, v4
	v_lshrrev_b32_e32 v0, 24, v0
	s_wait_alu 0xfffd
	v_dual_cndmask_b32 v5, 7, v5 :: v_dual_lshlrev_b32 v6, 3, v6
	s_delay_alu instid0(VALU_DEP_2) | instskip(NEXT) | instid1(VALU_DEP_2)
	v_and_b32_e32 v0, 0x80, v0
	v_or_b32_e32 v4, v4, v5
	s_delay_alu instid0(VALU_DEP_3) | instskip(NEXT) | instid1(VALU_DEP_2)
	v_and_b32_e32 v6, 0xf8, v6
	v_cmp_ne_u32_e32 vcc_lo, 0, v4
	v_and_b32_e32 v7, 7, v5
	s_delay_alu instid0(VALU_DEP_1) | instskip(SKIP_1) | instid1(VALU_DEP_1)
	v_or3_b32 v0, v6, v0, v7
	s_wait_alu 0xfffd
	v_cndmask_b32_e32 v4, 0, v0, vcc_lo
.LBB4_199:
	s_wait_alu 0xfffe
	s_or_b32 exec_lo, exec_lo, s6
.LBB4_200:
	s_wait_alu 0xfffe
	s_or_b32 exec_lo, exec_lo, s3
	v_and_b32_e32 v0, 0x7f800000, v1
	s_delay_alu instid0(VALU_DEP_1)
	v_cmp_ne_u32_e32 vcc_lo, 0x7f800000, v0
	v_mov_b32_e32 v0, 0x8000
	s_and_saveexec_b32 s3, vcc_lo
	s_cbranch_execz .LBB4_208
; %bb.201:
	v_mov_b32_e32 v0, 0
	s_mov_b32 s6, exec_lo
	v_cmpx_ne_u32_e32 0, v1
	s_cbranch_execz .LBB4_207
; %bb.202:
	v_bfe_u32 v0, v1, 23, 8
	s_delay_alu instid0(VALU_DEP_1) | instskip(SKIP_2) | instid1(VALU_DEP_2)
	v_sub_nc_u32_e32 v6, 0x78, v0
	v_cmp_gt_u32_e32 vcc_lo, 0x79, v0
	s_wait_alu 0xfffd
	v_dual_cndmask_b32 v6, 0, v6 :: v_dual_and_b32 v5, 0x7fffff, v1
	s_delay_alu instid0(VALU_DEP_1) | instskip(SKIP_2) | instid1(VALU_DEP_2)
	v_or_b32_e32 v7, 0x800000, v5
	v_cmp_eq_u32_e32 vcc_lo, 0, v0
	s_wait_alu 0xfffd
	v_dual_cndmask_b32 v5, v7, v5 :: v_dual_add_nc_u32 v0, 0xffffff89, v0
	v_cndmask_b32_e64 v6, v6, 0x77, vcc_lo
	s_delay_alu instid0(VALU_DEP_2) | instskip(NEXT) | instid1(VALU_DEP_2)
	v_cndmask_b32_e64 v0, v0, 0xffffff8a, vcc_lo
	v_lshrrev_b32_e32 v72, v6, v5
	v_lshl_add_u32 v7, 0x100000, v6, -1
	v_lshlrev_b32_e64 v74, v6, 0x80000
	s_delay_alu instid0(VALU_DEP_4) | instskip(NEXT) | instid1(VALU_DEP_4)
	v_add_nc_u32_e32 v6, v6, v0
	v_bfe_u32 v73, v72, 20, 1
	s_delay_alu instid0(VALU_DEP_4) | instskip(NEXT) | instid1(VALU_DEP_2)
	v_and_b32_e32 v5, v7, v5
	v_add_nc_u32_e32 v7, -1, v73
	s_delay_alu instid0(VALU_DEP_2) | instskip(SKIP_1) | instid1(VALU_DEP_1)
	v_cmp_eq_u32_e64 s0, v5, v74
	s_wait_alu 0xf1ff
	v_cndmask_b32_e64 v5, 0, v7, s0
	v_lshrrev_b32_e32 v7, 23, v72
	s_mov_b32 s0, exec_lo
	s_delay_alu instid0(VALU_DEP_2) | instskip(NEXT) | instid1(VALU_DEP_2)
	v_add_nc_u32_e32 v5, v5, v72
	v_xor_b32_e32 v7, 1, v7
	s_delay_alu instid0(VALU_DEP_2) | instskip(NEXT) | instid1(VALU_DEP_1)
	v_and_b32_e32 v0, 0xfffff, v5
	v_add_nc_u32_e32 v5, v0, v72
                                        ; implicit-def: $vgpr0
	s_delay_alu instid0(VALU_DEP_3)
	v_cmpx_ne_u32_e64 v6, v7
	s_wait_alu 0xfffe
	s_xor_b32 s0, exec_lo, s0
; %bb.203:
	s_delay_alu instid0(VALU_DEP_2) | instskip(SKIP_3) | instid1(VALU_DEP_2)
	v_cmp_lt_u32_e32 vcc_lo, 0xffffff, v5
	v_sub_nc_u32_e32 v0, v6, v7
	s_wait_alu 0xfffd
	v_cndmask_b32_e64 v6, 0, 1, vcc_lo
	v_add_co_ci_u32_e64 v0, null, 0, v0, vcc_lo
	s_delay_alu instid0(VALU_DEP_2)
	v_lshrrev_b32_e32 v5, v6, v5
; %bb.204:
	s_wait_alu 0xfffe
	s_and_not1_saveexec_b32 s0, s0
; %bb.205:
	s_delay_alu instid0(VALU_DEP_1)
	v_bfe_u32 v0, v5, 23, 1
; %bb.206:
	s_wait_alu 0xfffe
	s_or_b32 exec_lo, exec_lo, s0
	v_lshrrev_b32_e32 v5, 20, v5
	s_delay_alu instid0(VALU_DEP_2) | instskip(SKIP_3) | instid1(VALU_DEP_3)
	v_min_i32_e32 v6, 15, v0
	v_cmp_gt_i32_e32 vcc_lo, 16, v0
	v_lshrrev_b32_e32 v1, 24, v1
	s_wait_alu 0xfffd
	v_dual_cndmask_b32 v5, 7, v5 :: v_dual_lshlrev_b32 v6, 3, v6
	s_delay_alu instid0(VALU_DEP_2) | instskip(NEXT) | instid1(VALU_DEP_2)
	v_and_b32_e32 v1, 0x80, v1
	v_and_b32_e32 v6, 0xf8, v6
	s_delay_alu instid0(VALU_DEP_3) | instskip(SKIP_1) | instid1(VALU_DEP_2)
	v_and_b32_e32 v7, 7, v5
	v_or_b32_e32 v0, v0, v5
	v_or3_b32 v1, v1, v6, v7
	s_delay_alu instid0(VALU_DEP_2) | instskip(NEXT) | instid1(VALU_DEP_2)
	v_cmp_ne_u32_e32 vcc_lo, 0, v0
	v_lshlrev_b32_e32 v1, 8, v1
	s_wait_alu 0xfffd
	s_delay_alu instid0(VALU_DEP_1)
	v_cndmask_b32_e32 v0, 0, v1, vcc_lo
.LBB4_207:
	s_wait_alu 0xfffe
	s_or_b32 exec_lo, exec_lo, s6
.LBB4_208:
	s_wait_alu 0xfffe
	s_or_b32 exec_lo, exec_lo, s3
	v_and_b32_e32 v1, 0x7f800000, v2
	v_mov_b32_e32 v77, 0x800000
	s_mov_b32 s3, exec_lo
	s_delay_alu instid0(VALU_DEP_2)
	v_cmpx_ne_u32_e32 0x7f800000, v1
	s_cbranch_execz .LBB4_216
; %bb.209:
	v_mov_b32_e32 v77, 0
	s_mov_b32 s6, exec_lo
	v_cmpx_ne_u32_e32 0, v2
	s_cbranch_execz .LBB4_215
; %bb.210:
	v_bfe_u32 v1, v2, 23, 8
	v_and_b32_e32 v5, 0x7fffff, v2
	s_delay_alu instid0(VALU_DEP_2) | instskip(SKIP_1) | instid1(VALU_DEP_3)
	v_sub_nc_u32_e32 v6, 0x78, v1
	v_cmp_gt_u32_e32 vcc_lo, 0x79, v1
	v_or_b32_e32 v7, 0x800000, v5
	s_wait_alu 0xfffd
	s_delay_alu instid0(VALU_DEP_3)
	v_cndmask_b32_e32 v6, 0, v6, vcc_lo
	v_cmp_eq_u32_e32 vcc_lo, 0, v1
	v_add_nc_u32_e32 v1, 0xffffff89, v1
	s_wait_alu 0xfffd
	v_cndmask_b32_e32 v5, v7, v5, vcc_lo
	v_cndmask_b32_e64 v6, v6, 0x77, vcc_lo
	s_delay_alu instid0(VALU_DEP_3) | instskip(NEXT) | instid1(VALU_DEP_2)
	v_cndmask_b32_e64 v1, v1, 0xffffff8a, vcc_lo
	v_lshrrev_b32_e32 v72, v6, v5
	v_lshl_add_u32 v7, 0x100000, v6, -1
	v_lshlrev_b32_e64 v74, v6, 0x80000
	s_delay_alu instid0(VALU_DEP_4) | instskip(NEXT) | instid1(VALU_DEP_4)
	v_add_nc_u32_e32 v6, v6, v1
	v_bfe_u32 v73, v72, 20, 1
	s_delay_alu instid0(VALU_DEP_4) | instskip(NEXT) | instid1(VALU_DEP_2)
	v_and_b32_e32 v5, v7, v5
	v_add_nc_u32_e32 v7, -1, v73
	s_delay_alu instid0(VALU_DEP_2) | instskip(SKIP_1) | instid1(VALU_DEP_1)
	v_cmp_eq_u32_e64 s0, v5, v74
	s_wait_alu 0xf1ff
	v_cndmask_b32_e64 v5, 0, v7, s0
	v_lshrrev_b32_e32 v7, 23, v72
	s_mov_b32 s0, exec_lo
	s_delay_alu instid0(VALU_DEP_2) | instskip(NEXT) | instid1(VALU_DEP_2)
	v_add_nc_u32_e32 v5, v5, v72
	v_xor_b32_e32 v7, 1, v7
	s_delay_alu instid0(VALU_DEP_2) | instskip(NEXT) | instid1(VALU_DEP_1)
	v_and_b32_e32 v1, 0xfffff, v5
	v_add_nc_u32_e32 v5, v1, v72
                                        ; implicit-def: $vgpr1
	s_delay_alu instid0(VALU_DEP_3)
	v_cmpx_ne_u32_e64 v6, v7
	s_wait_alu 0xfffe
	s_xor_b32 s0, exec_lo, s0
; %bb.211:
	s_delay_alu instid0(VALU_DEP_2) | instskip(SKIP_3) | instid1(VALU_DEP_2)
	v_cmp_lt_u32_e32 vcc_lo, 0xffffff, v5
	v_sub_nc_u32_e32 v1, v6, v7
	s_wait_alu 0xfffd
	v_cndmask_b32_e64 v6, 0, 1, vcc_lo
	v_add_co_ci_u32_e64 v1, null, 0, v1, vcc_lo
	s_delay_alu instid0(VALU_DEP_2)
	v_lshrrev_b32_e32 v5, v6, v5
; %bb.212:
	s_wait_alu 0xfffe
	s_and_not1_saveexec_b32 s0, s0
; %bb.213:
	s_delay_alu instid0(VALU_DEP_1)
	v_bfe_u32 v1, v5, 23, 1
; %bb.214:
	s_wait_alu 0xfffe
	s_or_b32 exec_lo, exec_lo, s0
	v_lshrrev_b32_e32 v5, 20, v5
	s_delay_alu instid0(VALU_DEP_2) | instskip(SKIP_3) | instid1(VALU_DEP_3)
	v_min_i32_e32 v6, 15, v1
	v_cmp_gt_i32_e32 vcc_lo, 16, v1
	v_lshrrev_b32_e32 v2, 24, v2
	s_wait_alu 0xfffd
	v_dual_cndmask_b32 v5, 7, v5 :: v_dual_lshlrev_b32 v6, 3, v6
	s_delay_alu instid0(VALU_DEP_2) | instskip(NEXT) | instid1(VALU_DEP_2)
	v_and_b32_e32 v2, 0x80, v2
	v_and_b32_e32 v6, 0xf8, v6
	s_delay_alu instid0(VALU_DEP_3) | instskip(SKIP_1) | instid1(VALU_DEP_2)
	v_and_b32_e32 v7, 7, v5
	v_or_b32_e32 v1, v1, v5
	v_or3_b32 v2, v2, v6, v7
	s_delay_alu instid0(VALU_DEP_2) | instskip(NEXT) | instid1(VALU_DEP_2)
	v_cmp_ne_u32_e32 vcc_lo, 0, v1
	v_lshlrev_b32_e32 v2, 16, v2
	s_wait_alu 0xfffd
	s_delay_alu instid0(VALU_DEP_1)
	v_cndmask_b32_e32 v77, 0, v2, vcc_lo
.LBB4_215:
	s_wait_alu 0xfffe
	s_or_b32 exec_lo, exec_lo, s6
.LBB4_216:
	s_wait_alu 0xfffe
	s_or_b32 exec_lo, exec_lo, s3
	v_and_b32_e32 v1, 0x7f800000, v3
	v_bfrev_b32_e32 v78, 1
	s_mov_b32 s3, exec_lo
	s_delay_alu instid0(VALU_DEP_2)
	v_cmpx_ne_u32_e32 0x7f800000, v1
	s_cbranch_execz .LBB4_224
; %bb.217:
	v_mov_b32_e32 v78, 0
	s_mov_b32 s6, exec_lo
	v_cmpx_ne_u32_e32 0, v3
	s_cbranch_execz .LBB4_223
; %bb.218:
	v_bfe_u32 v1, v3, 23, 8
	s_delay_alu instid0(VALU_DEP_1) | instskip(SKIP_2) | instid1(VALU_DEP_2)
	v_sub_nc_u32_e32 v5, 0x78, v1
	v_cmp_gt_u32_e32 vcc_lo, 0x79, v1
	s_wait_alu 0xfffd
	v_dual_cndmask_b32 v5, 0, v5 :: v_dual_and_b32 v2, 0x7fffff, v3
	s_delay_alu instid0(VALU_DEP_1) | instskip(SKIP_2) | instid1(VALU_DEP_2)
	v_or_b32_e32 v6, 0x800000, v2
	v_cmp_eq_u32_e32 vcc_lo, 0, v1
	s_wait_alu 0xfffd
	v_dual_cndmask_b32 v2, v6, v2 :: v_dual_add_nc_u32 v1, 0xffffff89, v1
	v_cndmask_b32_e64 v5, v5, 0x77, vcc_lo
	s_delay_alu instid0(VALU_DEP_2) | instskip(NEXT) | instid1(VALU_DEP_2)
	v_cndmask_b32_e64 v1, v1, 0xffffff8a, vcc_lo
	v_lshrrev_b32_e32 v7, v5, v2
	v_lshl_add_u32 v6, 0x100000, v5, -1
	v_lshlrev_b32_e64 v73, v5, 0x80000
	s_delay_alu instid0(VALU_DEP_4) | instskip(NEXT) | instid1(VALU_DEP_4)
	v_add_nc_u32_e32 v5, v5, v1
	v_bfe_u32 v72, v7, 20, 1
	s_delay_alu instid0(VALU_DEP_4) | instskip(NEXT) | instid1(VALU_DEP_2)
	v_and_b32_e32 v2, v6, v2
	v_add_nc_u32_e32 v6, -1, v72
	s_delay_alu instid0(VALU_DEP_2) | instskip(SKIP_1) | instid1(VALU_DEP_1)
	v_cmp_eq_u32_e64 s0, v2, v73
	s_wait_alu 0xf1ff
	v_cndmask_b32_e64 v2, 0, v6, s0
	v_lshrrev_b32_e32 v6, 23, v7
	s_mov_b32 s0, exec_lo
	s_delay_alu instid0(VALU_DEP_2) | instskip(NEXT) | instid1(VALU_DEP_2)
	v_add_nc_u32_e32 v2, v2, v7
	v_xor_b32_e32 v6, 1, v6
	s_delay_alu instid0(VALU_DEP_2) | instskip(NEXT) | instid1(VALU_DEP_1)
	v_and_b32_e32 v1, 0xfffff, v2
	v_add_nc_u32_e32 v2, v1, v7
                                        ; implicit-def: $vgpr1
	s_delay_alu instid0(VALU_DEP_3)
	v_cmpx_ne_u32_e64 v5, v6
	s_wait_alu 0xfffe
	s_xor_b32 s0, exec_lo, s0
; %bb.219:
	s_delay_alu instid0(VALU_DEP_2) | instskip(SKIP_3) | instid1(VALU_DEP_2)
	v_cmp_lt_u32_e32 vcc_lo, 0xffffff, v2
	v_sub_nc_u32_e32 v1, v5, v6
	s_wait_alu 0xfffd
	v_cndmask_b32_e64 v5, 0, 1, vcc_lo
	v_add_co_ci_u32_e64 v1, null, 0, v1, vcc_lo
	s_delay_alu instid0(VALU_DEP_2)
	v_lshrrev_b32_e32 v2, v5, v2
; %bb.220:
	s_wait_alu 0xfffe
	s_and_not1_saveexec_b32 s0, s0
; %bb.221:
	s_delay_alu instid0(VALU_DEP_1)
	v_bfe_u32 v1, v2, 23, 1
; %bb.222:
	s_wait_alu 0xfffe
	s_or_b32 exec_lo, exec_lo, s0
	v_lshrrev_b32_e32 v2, 20, v2
	s_delay_alu instid0(VALU_DEP_2) | instskip(SKIP_3) | instid1(VALU_DEP_2)
	v_cmp_gt_i32_e32 vcc_lo, 16, v1
	v_lshrrev_b32_e32 v3, 24, v3
	v_min_i32_e32 v5, 15, v1
	s_wait_alu 0xfffd
	v_dual_cndmask_b32 v2, 7, v2 :: v_dual_and_b32 v3, 0x80, v3
	s_delay_alu instid0(VALU_DEP_1) | instskip(SKIP_1) | instid1(VALU_DEP_2)
	v_or_b32_e32 v1, v1, v2
	v_and_b32_e32 v6, 7, v2
	v_cmp_ne_u32_e32 vcc_lo, 0, v1
	v_lshlrev_b32_e32 v5, 3, v5
	s_delay_alu instid0(VALU_DEP_1) | instskip(NEXT) | instid1(VALU_DEP_1)
	v_or3_b32 v3, v3, v5, v6
	v_lshlrev_b32_e32 v2, 24, v3
	s_wait_alu 0xfffd
	s_delay_alu instid0(VALU_DEP_1)
	v_cndmask_b32_e32 v78, 0, v2, vcc_lo
.LBB4_223:
	s_wait_alu 0xfffe
	s_or_b32 exec_lo, exec_lo, s6
.LBB4_224:
	s_wait_alu 0xfffe
	s_or_b32 exec_lo, exec_lo, s3
	ds_load_b128 v[72:75], v92 offset:16
	v_or_b32_e32 v79, v0, v4
	v_wmma_f32_16x16x16_fp8_fp8 v[0:7], v[68:69], v[16:17], 0
	v_add_nc_u32_e32 v76, s2, v84
	s_mov_b32 s6, s1
	s_delay_alu instid0(VALU_DEP_3)
	v_or3_b32 v78, v77, v79, v78
	v_mov_b32_e32 v77, 0x80
	s_mov_b32 s3, exec_lo
	buffer_store_b32 v78, v76, s[4:7], null offen
	s_wait_dscnt 0x0
	v_and_b32_e32 v80, 0x7f800000, v72
	s_delay_alu instid0(VALU_DEP_1)
	v_cmpx_ne_u32_e32 0x7f800000, v80
	s_cbranch_execz .LBB4_232
; %bb.225:
	v_mov_b32_e32 v77, 0
	s_mov_b32 s6, exec_lo
	v_cmpx_ne_u32_e32 0, v72
	s_cbranch_execz .LBB4_231
; %bb.226:
	v_bfe_u32 v77, v72, 23, 8
	s_delay_alu instid0(VALU_DEP_1) | instskip(SKIP_2) | instid1(VALU_DEP_2)
	v_sub_nc_u32_e32 v79, 0x78, v77
	v_cmp_gt_u32_e32 vcc_lo, 0x79, v77
	s_wait_alu 0xfffd
	v_dual_cndmask_b32 v79, 0, v79 :: v_dual_and_b32 v78, 0x7fffff, v72
	s_delay_alu instid0(VALU_DEP_1) | instskip(SKIP_2) | instid1(VALU_DEP_2)
	v_or_b32_e32 v80, 0x800000, v78
	v_cmp_eq_u32_e32 vcc_lo, 0, v77
	s_wait_alu 0xfffd
	v_dual_cndmask_b32 v78, v80, v78 :: v_dual_add_nc_u32 v77, 0xffffff89, v77
	v_cndmask_b32_e64 v79, v79, 0x77, vcc_lo
	s_delay_alu instid0(VALU_DEP_2) | instskip(NEXT) | instid1(VALU_DEP_2)
	v_cndmask_b32_e64 v77, v77, 0xffffff8a, vcc_lo
	v_lshrrev_b32_e32 v81, v79, v78
	v_lshl_add_u32 v80, 0x100000, v79, -1
	v_lshlrev_b32_e64 v83, v79, 0x80000
	s_delay_alu instid0(VALU_DEP_4) | instskip(NEXT) | instid1(VALU_DEP_4)
	v_add_nc_u32_e32 v79, v79, v77
	v_bfe_u32 v82, v81, 20, 1
	s_delay_alu instid0(VALU_DEP_4) | instskip(NEXT) | instid1(VALU_DEP_2)
	v_and_b32_e32 v78, v80, v78
	v_add_nc_u32_e32 v80, -1, v82
	s_delay_alu instid0(VALU_DEP_2) | instskip(SKIP_1) | instid1(VALU_DEP_1)
	v_cmp_eq_u32_e64 s0, v78, v83
	s_wait_alu 0xf1ff
	v_cndmask_b32_e64 v78, 0, v80, s0
	v_lshrrev_b32_e32 v80, 23, v81
	s_mov_b32 s0, exec_lo
	s_delay_alu instid0(VALU_DEP_2) | instskip(NEXT) | instid1(VALU_DEP_2)
	v_add_nc_u32_e32 v78, v78, v81
	v_xor_b32_e32 v80, 1, v80
	s_delay_alu instid0(VALU_DEP_2) | instskip(NEXT) | instid1(VALU_DEP_1)
	v_and_b32_e32 v77, 0xfffff, v78
	v_add_nc_u32_e32 v78, v77, v81
                                        ; implicit-def: $vgpr77
	s_delay_alu instid0(VALU_DEP_3)
	v_cmpx_ne_u32_e64 v79, v80
	s_wait_alu 0xfffe
	s_xor_b32 s0, exec_lo, s0
; %bb.227:
	s_delay_alu instid0(VALU_DEP_2) | instskip(SKIP_3) | instid1(VALU_DEP_2)
	v_cmp_lt_u32_e32 vcc_lo, 0xffffff, v78
	v_sub_nc_u32_e32 v77, v79, v80
	s_wait_alu 0xfffd
	v_cndmask_b32_e64 v79, 0, 1, vcc_lo
	v_add_co_ci_u32_e64 v77, null, 0, v77, vcc_lo
	s_delay_alu instid0(VALU_DEP_2)
	v_lshrrev_b32_e32 v78, v79, v78
; %bb.228:
	s_wait_alu 0xfffe
	s_and_not1_saveexec_b32 s0, s0
; %bb.229:
	s_delay_alu instid0(VALU_DEP_1)
	v_bfe_u32 v77, v78, 23, 1
; %bb.230:
	s_wait_alu 0xfffe
	s_or_b32 exec_lo, exec_lo, s0
	v_lshrrev_b32_e32 v78, 20, v78
	s_delay_alu instid0(VALU_DEP_2) | instskip(SKIP_3) | instid1(VALU_DEP_2)
	v_cmp_gt_i32_e32 vcc_lo, 16, v77
	v_min_i32_e32 v79, 15, v77
	v_lshrrev_b32_e32 v72, 24, v72
	s_wait_alu 0xfffd
	v_dual_cndmask_b32 v78, 7, v78 :: v_dual_lshlrev_b32 v79, 3, v79
	s_delay_alu instid0(VALU_DEP_2) | instskip(NEXT) | instid1(VALU_DEP_2)
	v_and_b32_e32 v72, 0x80, v72
	v_or_b32_e32 v77, v77, v78
	s_delay_alu instid0(VALU_DEP_3) | instskip(NEXT) | instid1(VALU_DEP_2)
	v_and_b32_e32 v79, 0xf8, v79
	v_cmp_ne_u32_e32 vcc_lo, 0, v77
	v_and_b32_e32 v80, 7, v78
	s_delay_alu instid0(VALU_DEP_1) | instskip(SKIP_1) | instid1(VALU_DEP_1)
	v_or3_b32 v72, v79, v72, v80
	s_wait_alu 0xfffd
	v_cndmask_b32_e32 v77, 0, v72, vcc_lo
.LBB4_231:
	s_wait_alu 0xfffe
	s_or_b32 exec_lo, exec_lo, s6
.LBB4_232:
	s_delay_alu instid0(SALU_CYCLE_1) | instskip(SKIP_2) | instid1(VALU_DEP_2)
	s_or_b32 exec_lo, exec_lo, s3
	v_and_b32_e32 v72, 0x7f800000, v73
	v_wmma_f32_16x16x16_fp8_fp8 v[0:7], v[70:71], v[18:19], v[0:7]
	v_cmp_ne_u32_e32 vcc_lo, 0x7f800000, v72
	v_mov_b32_e32 v72, 0x8000
	s_and_saveexec_b32 s3, vcc_lo
	s_cbranch_execz .LBB4_240
; %bb.233:
	v_mov_b32_e32 v72, 0
	s_mov_b32 s6, exec_lo
	v_cmpx_ne_u32_e32 0, v73
	s_cbranch_execz .LBB4_239
; %bb.234:
	v_bfe_u32 v72, v73, 23, 8
	s_delay_alu instid0(VALU_DEP_1) | instskip(SKIP_2) | instid1(VALU_DEP_2)
	v_sub_nc_u32_e32 v79, 0x78, v72
	v_cmp_gt_u32_e32 vcc_lo, 0x79, v72
	s_wait_alu 0xfffd
	v_dual_cndmask_b32 v79, 0, v79 :: v_dual_and_b32 v78, 0x7fffff, v73
	s_delay_alu instid0(VALU_DEP_1) | instskip(SKIP_4) | instid1(VALU_DEP_2)
	v_or_b32_e32 v80, 0x800000, v78
	v_cmp_eq_u32_e32 vcc_lo, 0, v72
	v_add_nc_u32_e32 v72, 0xffffff89, v72
	s_wait_alu 0xfffd
	v_cndmask_b32_e64 v79, v79, 0x77, vcc_lo
	v_cndmask_b32_e64 v72, v72, 0xffffff8a, vcc_lo
	v_cndmask_b32_e32 v78, v80, v78, vcc_lo
	s_delay_alu instid0(VALU_DEP_3) | instskip(SKIP_1) | instid1(VALU_DEP_3)
	v_lshl_add_u32 v80, 0x100000, v79, -1
	v_lshlrev_b32_e64 v83, v79, 0x80000
	v_lshrrev_b32_e32 v81, v79, v78
	v_add_nc_u32_e32 v79, v79, v72
	s_delay_alu instid0(VALU_DEP_4) | instskip(NEXT) | instid1(VALU_DEP_3)
	v_and_b32_e32 v78, v80, v78
	v_bfe_u32 v82, v81, 20, 1
	s_delay_alu instid0(VALU_DEP_2) | instskip(NEXT) | instid1(VALU_DEP_2)
	v_cmp_eq_u32_e64 s0, v78, v83
	v_add_nc_u32_e32 v80, -1, v82
	s_wait_alu 0xf1ff
	s_delay_alu instid0(VALU_DEP_1) | instskip(SKIP_2) | instid1(VALU_DEP_2)
	v_cndmask_b32_e64 v78, 0, v80, s0
	v_lshrrev_b32_e32 v80, 23, v81
	s_mov_b32 s0, exec_lo
	v_add_nc_u32_e32 v78, v78, v81
	s_delay_alu instid0(VALU_DEP_2) | instskip(NEXT) | instid1(VALU_DEP_2)
	v_xor_b32_e32 v80, 1, v80
	v_and_b32_e32 v72, 0xfffff, v78
	s_delay_alu instid0(VALU_DEP_1) | instskip(NEXT) | instid1(VALU_DEP_3)
	v_add_nc_u32_e32 v78, v72, v81
                                        ; implicit-def: $vgpr72
	v_cmpx_ne_u32_e64 v79, v80
	s_wait_alu 0xfffe
	s_xor_b32 s0, exec_lo, s0
; %bb.235:
	s_delay_alu instid0(VALU_DEP_2) | instskip(SKIP_3) | instid1(VALU_DEP_2)
	v_cmp_lt_u32_e32 vcc_lo, 0xffffff, v78
	v_sub_nc_u32_e32 v72, v79, v80
	s_wait_alu 0xfffd
	v_cndmask_b32_e64 v79, 0, 1, vcc_lo
	v_add_co_ci_u32_e64 v72, null, 0, v72, vcc_lo
	s_delay_alu instid0(VALU_DEP_2)
	v_lshrrev_b32_e32 v78, v79, v78
; %bb.236:
	s_wait_alu 0xfffe
	s_and_not1_saveexec_b32 s0, s0
; %bb.237:
	s_delay_alu instid0(VALU_DEP_1)
	v_bfe_u32 v72, v78, 23, 1
; %bb.238:
	s_wait_alu 0xfffe
	s_or_b32 exec_lo, exec_lo, s0
	v_lshrrev_b32_e32 v78, 20, v78
	s_delay_alu instid0(VALU_DEP_2) | instskip(SKIP_3) | instid1(VALU_DEP_2)
	v_cmp_gt_i32_e32 vcc_lo, 16, v72
	v_min_i32_e32 v79, 15, v72
	v_lshrrev_b32_e32 v73, 24, v73
	s_wait_alu 0xfffd
	v_dual_cndmask_b32 v78, 7, v78 :: v_dual_lshlrev_b32 v79, 3, v79
	s_delay_alu instid0(VALU_DEP_2) | instskip(NEXT) | instid1(VALU_DEP_2)
	v_and_b32_e32 v73, 0x80, v73
	v_or_b32_e32 v72, v72, v78
	v_and_b32_e32 v80, 7, v78
	s_delay_alu instid0(VALU_DEP_2) | instskip(SKIP_1) | instid1(VALU_DEP_1)
	v_cmp_ne_u32_e32 vcc_lo, 0, v72
	v_and_b32_e32 v79, 0xf8, v79
	v_or3_b32 v73, v73, v79, v80
	s_delay_alu instid0(VALU_DEP_1) | instskip(SKIP_1) | instid1(VALU_DEP_1)
	v_lshlrev_b32_e32 v73, 8, v73
	s_wait_alu 0xfffd
	v_cndmask_b32_e32 v72, 0, v73, vcc_lo
.LBB4_239:
	s_wait_alu 0xfffe
	s_or_b32 exec_lo, exec_lo, s6
.LBB4_240:
	s_wait_alu 0xfffe
	s_or_b32 exec_lo, exec_lo, s3
	v_and_b32_e32 v73, 0x7f800000, v74
	v_wmma_f32_16x16x16_fp8_fp8 v[0:7], v[64:65], v[8:9], v[0:7]
	s_delay_alu instid0(VALU_DEP_2)
	v_cmp_ne_u32_e32 vcc_lo, 0x7f800000, v73
	v_mov_b32_e32 v73, 0x800000
	s_and_saveexec_b32 s3, vcc_lo
	s_cbranch_execz .LBB4_248
; %bb.241:
	v_mov_b32_e32 v73, 0
	s_mov_b32 s6, exec_lo
	v_cmpx_ne_u32_e32 0, v74
	s_cbranch_execz .LBB4_247
; %bb.242:
	v_bfe_u32 v73, v74, 23, 8
	s_delay_alu instid0(VALU_DEP_1) | instskip(SKIP_2) | instid1(VALU_DEP_2)
	v_sub_nc_u32_e32 v79, 0x78, v73
	v_cmp_gt_u32_e32 vcc_lo, 0x79, v73
	s_wait_alu 0xfffd
	v_dual_cndmask_b32 v79, 0, v79 :: v_dual_and_b32 v78, 0x7fffff, v74
	s_delay_alu instid0(VALU_DEP_1) | instskip(SKIP_2) | instid1(VALU_DEP_2)
	v_or_b32_e32 v80, 0x800000, v78
	v_cmp_eq_u32_e32 vcc_lo, 0, v73
	s_wait_alu 0xfffd
	v_dual_cndmask_b32 v78, v80, v78 :: v_dual_add_nc_u32 v73, 0xffffff89, v73
	v_cndmask_b32_e64 v79, v79, 0x77, vcc_lo
	s_delay_alu instid0(VALU_DEP_2) | instskip(NEXT) | instid1(VALU_DEP_2)
	v_cndmask_b32_e64 v73, v73, 0xffffff8a, vcc_lo
	v_lshrrev_b32_e32 v81, v79, v78
	v_lshl_add_u32 v80, 0x100000, v79, -1
	v_lshlrev_b32_e64 v83, v79, 0x80000
	s_delay_alu instid0(VALU_DEP_4) | instskip(NEXT) | instid1(VALU_DEP_4)
	v_add_nc_u32_e32 v79, v79, v73
	v_bfe_u32 v82, v81, 20, 1
	s_delay_alu instid0(VALU_DEP_4) | instskip(NEXT) | instid1(VALU_DEP_2)
	v_and_b32_e32 v78, v80, v78
	v_add_nc_u32_e32 v80, -1, v82
	s_delay_alu instid0(VALU_DEP_2) | instskip(SKIP_1) | instid1(VALU_DEP_1)
	v_cmp_eq_u32_e64 s0, v78, v83
	s_wait_alu 0xf1ff
	v_cndmask_b32_e64 v78, 0, v80, s0
	v_lshrrev_b32_e32 v80, 23, v81
	s_mov_b32 s0, exec_lo
	s_delay_alu instid0(VALU_DEP_2) | instskip(NEXT) | instid1(VALU_DEP_2)
	v_add_nc_u32_e32 v78, v78, v81
	v_xor_b32_e32 v80, 1, v80
	s_delay_alu instid0(VALU_DEP_2) | instskip(NEXT) | instid1(VALU_DEP_1)
	v_and_b32_e32 v73, 0xfffff, v78
	v_add_nc_u32_e32 v78, v73, v81
                                        ; implicit-def: $vgpr73
	s_delay_alu instid0(VALU_DEP_3)
	v_cmpx_ne_u32_e64 v79, v80
	s_wait_alu 0xfffe
	s_xor_b32 s0, exec_lo, s0
; %bb.243:
	s_delay_alu instid0(VALU_DEP_2) | instskip(SKIP_3) | instid1(VALU_DEP_2)
	v_cmp_lt_u32_e32 vcc_lo, 0xffffff, v78
	v_sub_nc_u32_e32 v73, v79, v80
	s_wait_alu 0xfffd
	v_cndmask_b32_e64 v79, 0, 1, vcc_lo
	v_add_co_ci_u32_e64 v73, null, 0, v73, vcc_lo
	s_delay_alu instid0(VALU_DEP_2)
	v_lshrrev_b32_e32 v78, v79, v78
; %bb.244:
	s_wait_alu 0xfffe
	s_and_not1_saveexec_b32 s0, s0
; %bb.245:
	s_delay_alu instid0(VALU_DEP_1)
	v_bfe_u32 v73, v78, 23, 1
; %bb.246:
	s_wait_alu 0xfffe
	s_or_b32 exec_lo, exec_lo, s0
	v_lshrrev_b32_e32 v78, 20, v78
	s_delay_alu instid0(VALU_DEP_2) | instskip(SKIP_3) | instid1(VALU_DEP_3)
	v_min_i32_e32 v79, 15, v73
	v_cmp_gt_i32_e32 vcc_lo, 16, v73
	v_lshrrev_b32_e32 v74, 24, v74
	s_wait_alu 0xfffd
	v_dual_cndmask_b32 v78, 7, v78 :: v_dual_lshlrev_b32 v79, 3, v79
	s_delay_alu instid0(VALU_DEP_2) | instskip(NEXT) | instid1(VALU_DEP_2)
	v_and_b32_e32 v74, 0x80, v74
	v_and_b32_e32 v79, 0xf8, v79
	s_delay_alu instid0(VALU_DEP_3) | instskip(SKIP_1) | instid1(VALU_DEP_2)
	v_and_b32_e32 v80, 7, v78
	v_or_b32_e32 v73, v73, v78
	v_or3_b32 v74, v74, v79, v80
	s_delay_alu instid0(VALU_DEP_2) | instskip(NEXT) | instid1(VALU_DEP_2)
	v_cmp_ne_u32_e32 vcc_lo, 0, v73
	v_lshlrev_b32_e32 v74, 16, v74
	s_wait_alu 0xfffd
	s_delay_alu instid0(VALU_DEP_1)
	v_cndmask_b32_e32 v73, 0, v74, vcc_lo
.LBB4_247:
	s_wait_alu 0xfffe
	s_or_b32 exec_lo, exec_lo, s6
.LBB4_248:
	s_wait_alu 0xfffe
	s_or_b32 exec_lo, exec_lo, s3
	v_and_b32_e32 v74, 0x7f800000, v75
	v_wmma_f32_16x16x16_fp8_fp8 v[0:7], v[66:67], v[10:11], v[0:7]
	s_delay_alu instid0(VALU_DEP_2)
	v_cmp_ne_u32_e32 vcc_lo, 0x7f800000, v74
	v_bfrev_b32_e32 v74, 1
	s_and_saveexec_b32 s3, vcc_lo
	s_cbranch_execz .LBB4_256
; %bb.249:
	v_mov_b32_e32 v74, 0
	s_mov_b32 s6, exec_lo
	v_cmpx_ne_u32_e32 0, v75
	s_cbranch_execz .LBB4_255
; %bb.250:
	v_bfe_u32 v74, v75, 23, 8
	v_and_b32_e32 v78, 0x7fffff, v75
	s_delay_alu instid0(VALU_DEP_2) | instskip(SKIP_1) | instid1(VALU_DEP_3)
	v_sub_nc_u32_e32 v79, 0x78, v74
	v_cmp_gt_u32_e32 vcc_lo, 0x79, v74
	v_or_b32_e32 v80, 0x800000, v78
	s_wait_alu 0xfffd
	s_delay_alu instid0(VALU_DEP_3)
	v_cndmask_b32_e32 v79, 0, v79, vcc_lo
	v_cmp_eq_u32_e32 vcc_lo, 0, v74
	v_add_nc_u32_e32 v74, 0xffffff89, v74
	s_wait_alu 0xfffd
	v_cndmask_b32_e32 v78, v80, v78, vcc_lo
	v_cndmask_b32_e64 v79, v79, 0x77, vcc_lo
	s_delay_alu instid0(VALU_DEP_3) | instskip(NEXT) | instid1(VALU_DEP_2)
	v_cndmask_b32_e64 v74, v74, 0xffffff8a, vcc_lo
	v_lshrrev_b32_e32 v81, v79, v78
	v_lshl_add_u32 v80, 0x100000, v79, -1
	v_lshlrev_b32_e64 v83, v79, 0x80000
	s_delay_alu instid0(VALU_DEP_4) | instskip(NEXT) | instid1(VALU_DEP_4)
	v_add_nc_u32_e32 v79, v79, v74
	v_bfe_u32 v82, v81, 20, 1
	s_delay_alu instid0(VALU_DEP_4) | instskip(NEXT) | instid1(VALU_DEP_2)
	v_and_b32_e32 v78, v80, v78
	v_add_nc_u32_e32 v80, -1, v82
	s_delay_alu instid0(VALU_DEP_2) | instskip(SKIP_1) | instid1(VALU_DEP_1)
	v_cmp_eq_u32_e64 s0, v78, v83
	s_wait_alu 0xf1ff
	v_cndmask_b32_e64 v78, 0, v80, s0
	v_lshrrev_b32_e32 v80, 23, v81
	s_mov_b32 s0, exec_lo
	s_delay_alu instid0(VALU_DEP_2) | instskip(NEXT) | instid1(VALU_DEP_2)
	v_add_nc_u32_e32 v78, v78, v81
	v_xor_b32_e32 v80, 1, v80
	s_delay_alu instid0(VALU_DEP_2) | instskip(NEXT) | instid1(VALU_DEP_1)
	v_and_b32_e32 v74, 0xfffff, v78
	v_add_nc_u32_e32 v78, v74, v81
                                        ; implicit-def: $vgpr74
	s_delay_alu instid0(VALU_DEP_3)
	v_cmpx_ne_u32_e64 v79, v80
	s_wait_alu 0xfffe
	s_xor_b32 s0, exec_lo, s0
; %bb.251:
	s_delay_alu instid0(VALU_DEP_2) | instskip(SKIP_3) | instid1(VALU_DEP_2)
	v_cmp_lt_u32_e32 vcc_lo, 0xffffff, v78
	v_sub_nc_u32_e32 v74, v79, v80
	s_wait_alu 0xfffd
	v_cndmask_b32_e64 v79, 0, 1, vcc_lo
	v_add_co_ci_u32_e64 v74, null, 0, v74, vcc_lo
	s_delay_alu instid0(VALU_DEP_2)
	v_lshrrev_b32_e32 v78, v79, v78
; %bb.252:
	s_wait_alu 0xfffe
	s_and_not1_saveexec_b32 s0, s0
; %bb.253:
	s_delay_alu instid0(VALU_DEP_1)
	v_bfe_u32 v74, v78, 23, 1
; %bb.254:
	s_wait_alu 0xfffe
	s_or_b32 exec_lo, exec_lo, s0
	v_lshrrev_b32_e32 v78, 20, v78
	s_delay_alu instid0(VALU_DEP_2) | instskip(SKIP_3) | instid1(VALU_DEP_2)
	v_cmp_gt_i32_e32 vcc_lo, 16, v74
	v_lshrrev_b32_e32 v75, 24, v75
	v_min_i32_e32 v79, 15, v74
	s_wait_alu 0xfffd
	v_dual_cndmask_b32 v78, 7, v78 :: v_dual_and_b32 v75, 0x80, v75
	s_delay_alu instid0(VALU_DEP_2) | instskip(NEXT) | instid1(VALU_DEP_2)
	v_lshlrev_b32_e32 v79, 3, v79
	v_and_b32_e32 v80, 7, v78
	v_or_b32_e32 v74, v74, v78
	s_delay_alu instid0(VALU_DEP_2) | instskip(NEXT) | instid1(VALU_DEP_2)
	v_or3_b32 v75, v75, v79, v80
	v_cmp_ne_u32_e32 vcc_lo, 0, v74
	s_delay_alu instid0(VALU_DEP_2) | instskip(SKIP_1) | instid1(VALU_DEP_1)
	v_lshlrev_b32_e32 v75, 24, v75
	s_wait_alu 0xfffd
	v_cndmask_b32_e32 v74, 0, v75, vcc_lo
.LBB4_255:
	s_wait_alu 0xfffe
	s_or_b32 exec_lo, exec_lo, s6
.LBB4_256:
	s_wait_alu 0xfffe
	s_or_b32 exec_lo, exec_lo, s3
	v_or_b32_e32 v72, v72, v77
	s_mov_b32 s6, s1
	s_delay_alu instid0(VALU_DEP_1)
	v_or3_b32 v72, v73, v72, v74
	buffer_store_b32 v72, v76, s[4:7], null offen offset:4
	s_wait_dscnt 0x0
	s_barrier_signal -1
	s_barrier_wait -1
	ds_store_2addr_stride64_b32 v93, v0, v1 offset1:1
	ds_store_2addr_stride64_b32 v93, v2, v3 offset0:2 offset1:3
	ds_store_2addr_stride64_b32 v93, v4, v5 offset0:4 offset1:5
	;; [unrolled: 1-line block ×3, first 2 shown]
	s_wait_dscnt 0x0
	s_barrier_signal -1
	s_barrier_wait -1
	ds_load_b128 v[0:3], v92
	s_wait_dscnt 0x0
	v_and_b32_e32 v4, 0x7f800000, v0
	s_delay_alu instid0(VALU_DEP_1)
	v_cmp_ne_u32_e32 vcc_lo, 0x7f800000, v4
	v_mov_b32_e32 v4, 0x80
	s_and_saveexec_b32 s3, vcc_lo
	s_cbranch_execz .LBB4_264
; %bb.257:
	v_mov_b32_e32 v4, 0
	s_mov_b32 s6, exec_lo
	v_cmpx_ne_u32_e32 0, v0
	s_cbranch_execz .LBB4_263
; %bb.258:
	v_bfe_u32 v4, v0, 23, 8
	s_delay_alu instid0(VALU_DEP_1) | instskip(SKIP_2) | instid1(VALU_DEP_2)
	v_sub_nc_u32_e32 v6, 0x78, v4
	v_cmp_gt_u32_e32 vcc_lo, 0x79, v4
	s_wait_alu 0xfffd
	v_dual_cndmask_b32 v6, 0, v6 :: v_dual_and_b32 v5, 0x7fffff, v0
	s_delay_alu instid0(VALU_DEP_1) | instskip(SKIP_2) | instid1(VALU_DEP_2)
	v_or_b32_e32 v7, 0x800000, v5
	v_cmp_eq_u32_e32 vcc_lo, 0, v4
	s_wait_alu 0xfffd
	v_dual_cndmask_b32 v5, v7, v5 :: v_dual_add_nc_u32 v4, 0xffffff89, v4
	v_cndmask_b32_e64 v6, v6, 0x77, vcc_lo
	s_delay_alu instid0(VALU_DEP_2) | instskip(NEXT) | instid1(VALU_DEP_2)
	v_cndmask_b32_e64 v4, v4, 0xffffff8a, vcc_lo
	v_lshrrev_b32_e32 v72, v6, v5
	v_lshl_add_u32 v7, 0x100000, v6, -1
	v_lshlrev_b32_e64 v74, v6, 0x80000
	s_delay_alu instid0(VALU_DEP_4) | instskip(NEXT) | instid1(VALU_DEP_4)
	v_add_nc_u32_e32 v6, v6, v4
	v_bfe_u32 v73, v72, 20, 1
	s_delay_alu instid0(VALU_DEP_4) | instskip(NEXT) | instid1(VALU_DEP_2)
	v_and_b32_e32 v5, v7, v5
	v_add_nc_u32_e32 v7, -1, v73
	s_delay_alu instid0(VALU_DEP_2) | instskip(SKIP_1) | instid1(VALU_DEP_1)
	v_cmp_eq_u32_e64 s0, v5, v74
	s_wait_alu 0xf1ff
	v_cndmask_b32_e64 v5, 0, v7, s0
	v_lshrrev_b32_e32 v7, 23, v72
	s_mov_b32 s0, exec_lo
	s_delay_alu instid0(VALU_DEP_2) | instskip(NEXT) | instid1(VALU_DEP_2)
	v_add_nc_u32_e32 v5, v5, v72
	v_xor_b32_e32 v7, 1, v7
	s_delay_alu instid0(VALU_DEP_2) | instskip(NEXT) | instid1(VALU_DEP_1)
	v_and_b32_e32 v4, 0xfffff, v5
	v_add_nc_u32_e32 v5, v4, v72
                                        ; implicit-def: $vgpr4
	s_delay_alu instid0(VALU_DEP_3)
	v_cmpx_ne_u32_e64 v6, v7
	s_wait_alu 0xfffe
	s_xor_b32 s0, exec_lo, s0
; %bb.259:
	s_delay_alu instid0(VALU_DEP_2) | instskip(SKIP_3) | instid1(VALU_DEP_2)
	v_cmp_lt_u32_e32 vcc_lo, 0xffffff, v5
	v_sub_nc_u32_e32 v4, v6, v7
	s_wait_alu 0xfffd
	v_cndmask_b32_e64 v6, 0, 1, vcc_lo
	v_add_co_ci_u32_e64 v4, null, 0, v4, vcc_lo
	s_delay_alu instid0(VALU_DEP_2)
	v_lshrrev_b32_e32 v5, v6, v5
; %bb.260:
	s_wait_alu 0xfffe
	s_and_not1_saveexec_b32 s0, s0
; %bb.261:
	s_delay_alu instid0(VALU_DEP_1)
	v_bfe_u32 v4, v5, 23, 1
; %bb.262:
	s_wait_alu 0xfffe
	s_or_b32 exec_lo, exec_lo, s0
	v_lshrrev_b32_e32 v5, 20, v5
	s_delay_alu instid0(VALU_DEP_2) | instskip(SKIP_3) | instid1(VALU_DEP_2)
	v_cmp_gt_i32_e32 vcc_lo, 16, v4
	v_min_i32_e32 v6, 15, v4
	v_lshrrev_b32_e32 v0, 24, v0
	s_wait_alu 0xfffd
	v_dual_cndmask_b32 v5, 7, v5 :: v_dual_lshlrev_b32 v6, 3, v6
	s_delay_alu instid0(VALU_DEP_2) | instskip(NEXT) | instid1(VALU_DEP_2)
	v_and_b32_e32 v0, 0x80, v0
	v_or_b32_e32 v4, v4, v5
	s_delay_alu instid0(VALU_DEP_3) | instskip(NEXT) | instid1(VALU_DEP_2)
	v_and_b32_e32 v6, 0xf8, v6
	v_cmp_ne_u32_e32 vcc_lo, 0, v4
	v_and_b32_e32 v7, 7, v5
	s_delay_alu instid0(VALU_DEP_1) | instskip(SKIP_1) | instid1(VALU_DEP_1)
	v_or3_b32 v0, v6, v0, v7
	s_wait_alu 0xfffd
	v_cndmask_b32_e32 v4, 0, v0, vcc_lo
.LBB4_263:
	s_wait_alu 0xfffe
	s_or_b32 exec_lo, exec_lo, s6
.LBB4_264:
	s_wait_alu 0xfffe
	s_or_b32 exec_lo, exec_lo, s3
	v_and_b32_e32 v0, 0x7f800000, v1
	s_delay_alu instid0(VALU_DEP_1)
	v_cmp_ne_u32_e32 vcc_lo, 0x7f800000, v0
	v_mov_b32_e32 v0, 0x8000
	s_and_saveexec_b32 s3, vcc_lo
	s_cbranch_execz .LBB4_272
; %bb.265:
	v_mov_b32_e32 v0, 0
	s_mov_b32 s6, exec_lo
	v_cmpx_ne_u32_e32 0, v1
	s_cbranch_execz .LBB4_271
; %bb.266:
	v_bfe_u32 v0, v1, 23, 8
	s_delay_alu instid0(VALU_DEP_1) | instskip(SKIP_2) | instid1(VALU_DEP_2)
	v_sub_nc_u32_e32 v6, 0x78, v0
	v_cmp_gt_u32_e32 vcc_lo, 0x79, v0
	s_wait_alu 0xfffd
	v_dual_cndmask_b32 v6, 0, v6 :: v_dual_and_b32 v5, 0x7fffff, v1
	s_delay_alu instid0(VALU_DEP_1) | instskip(SKIP_2) | instid1(VALU_DEP_2)
	v_or_b32_e32 v7, 0x800000, v5
	v_cmp_eq_u32_e32 vcc_lo, 0, v0
	s_wait_alu 0xfffd
	v_dual_cndmask_b32 v5, v7, v5 :: v_dual_add_nc_u32 v0, 0xffffff89, v0
	v_cndmask_b32_e64 v6, v6, 0x77, vcc_lo
	s_delay_alu instid0(VALU_DEP_2) | instskip(NEXT) | instid1(VALU_DEP_2)
	v_cndmask_b32_e64 v0, v0, 0xffffff8a, vcc_lo
	v_lshrrev_b32_e32 v72, v6, v5
	v_lshl_add_u32 v7, 0x100000, v6, -1
	v_lshlrev_b32_e64 v74, v6, 0x80000
	s_delay_alu instid0(VALU_DEP_4) | instskip(NEXT) | instid1(VALU_DEP_4)
	v_add_nc_u32_e32 v6, v6, v0
	v_bfe_u32 v73, v72, 20, 1
	s_delay_alu instid0(VALU_DEP_4) | instskip(NEXT) | instid1(VALU_DEP_2)
	v_and_b32_e32 v5, v7, v5
	v_add_nc_u32_e32 v7, -1, v73
	s_delay_alu instid0(VALU_DEP_2) | instskip(SKIP_1) | instid1(VALU_DEP_1)
	v_cmp_eq_u32_e64 s0, v5, v74
	s_wait_alu 0xf1ff
	v_cndmask_b32_e64 v5, 0, v7, s0
	v_lshrrev_b32_e32 v7, 23, v72
	s_mov_b32 s0, exec_lo
	s_delay_alu instid0(VALU_DEP_2) | instskip(NEXT) | instid1(VALU_DEP_2)
	v_add_nc_u32_e32 v5, v5, v72
	v_xor_b32_e32 v7, 1, v7
	s_delay_alu instid0(VALU_DEP_2) | instskip(NEXT) | instid1(VALU_DEP_1)
	v_and_b32_e32 v0, 0xfffff, v5
	v_add_nc_u32_e32 v5, v0, v72
                                        ; implicit-def: $vgpr0
	s_delay_alu instid0(VALU_DEP_3)
	v_cmpx_ne_u32_e64 v6, v7
	s_wait_alu 0xfffe
	s_xor_b32 s0, exec_lo, s0
; %bb.267:
	s_delay_alu instid0(VALU_DEP_2) | instskip(SKIP_3) | instid1(VALU_DEP_2)
	v_cmp_lt_u32_e32 vcc_lo, 0xffffff, v5
	v_sub_nc_u32_e32 v0, v6, v7
	s_wait_alu 0xfffd
	v_cndmask_b32_e64 v6, 0, 1, vcc_lo
	v_add_co_ci_u32_e64 v0, null, 0, v0, vcc_lo
	s_delay_alu instid0(VALU_DEP_2)
	v_lshrrev_b32_e32 v5, v6, v5
; %bb.268:
	s_wait_alu 0xfffe
	s_and_not1_saveexec_b32 s0, s0
; %bb.269:
	s_delay_alu instid0(VALU_DEP_1)
	v_bfe_u32 v0, v5, 23, 1
; %bb.270:
	s_wait_alu 0xfffe
	s_or_b32 exec_lo, exec_lo, s0
	v_lshrrev_b32_e32 v5, 20, v5
	s_delay_alu instid0(VALU_DEP_2) | instskip(SKIP_3) | instid1(VALU_DEP_3)
	v_min_i32_e32 v6, 15, v0
	v_cmp_gt_i32_e32 vcc_lo, 16, v0
	v_lshrrev_b32_e32 v1, 24, v1
	s_wait_alu 0xfffd
	v_dual_cndmask_b32 v5, 7, v5 :: v_dual_lshlrev_b32 v6, 3, v6
	s_delay_alu instid0(VALU_DEP_2) | instskip(NEXT) | instid1(VALU_DEP_2)
	v_and_b32_e32 v1, 0x80, v1
	v_and_b32_e32 v6, 0xf8, v6
	s_delay_alu instid0(VALU_DEP_3) | instskip(SKIP_1) | instid1(VALU_DEP_2)
	v_and_b32_e32 v7, 7, v5
	v_or_b32_e32 v0, v0, v5
	v_or3_b32 v1, v1, v6, v7
	s_delay_alu instid0(VALU_DEP_2) | instskip(NEXT) | instid1(VALU_DEP_2)
	v_cmp_ne_u32_e32 vcc_lo, 0, v0
	v_lshlrev_b32_e32 v1, 8, v1
	s_wait_alu 0xfffd
	s_delay_alu instid0(VALU_DEP_1)
	v_cndmask_b32_e32 v0, 0, v1, vcc_lo
.LBB4_271:
	s_wait_alu 0xfffe
	s_or_b32 exec_lo, exec_lo, s6
.LBB4_272:
	s_wait_alu 0xfffe
	s_or_b32 exec_lo, exec_lo, s3
	v_and_b32_e32 v1, 0x7f800000, v2
	v_mov_b32_e32 v77, 0x800000
	s_mov_b32 s3, exec_lo
	s_delay_alu instid0(VALU_DEP_2)
	v_cmpx_ne_u32_e32 0x7f800000, v1
	s_cbranch_execz .LBB4_280
; %bb.273:
	v_mov_b32_e32 v77, 0
	s_mov_b32 s6, exec_lo
	v_cmpx_ne_u32_e32 0, v2
	s_cbranch_execz .LBB4_279
; %bb.274:
	v_bfe_u32 v1, v2, 23, 8
	v_and_b32_e32 v5, 0x7fffff, v2
	s_delay_alu instid0(VALU_DEP_2) | instskip(SKIP_1) | instid1(VALU_DEP_3)
	v_sub_nc_u32_e32 v6, 0x78, v1
	v_cmp_gt_u32_e32 vcc_lo, 0x79, v1
	v_or_b32_e32 v7, 0x800000, v5
	s_wait_alu 0xfffd
	s_delay_alu instid0(VALU_DEP_3)
	v_cndmask_b32_e32 v6, 0, v6, vcc_lo
	v_cmp_eq_u32_e32 vcc_lo, 0, v1
	v_add_nc_u32_e32 v1, 0xffffff89, v1
	s_wait_alu 0xfffd
	v_cndmask_b32_e32 v5, v7, v5, vcc_lo
	v_cndmask_b32_e64 v6, v6, 0x77, vcc_lo
	s_delay_alu instid0(VALU_DEP_3) | instskip(NEXT) | instid1(VALU_DEP_2)
	v_cndmask_b32_e64 v1, v1, 0xffffff8a, vcc_lo
	v_lshrrev_b32_e32 v72, v6, v5
	v_lshl_add_u32 v7, 0x100000, v6, -1
	v_lshlrev_b32_e64 v74, v6, 0x80000
	s_delay_alu instid0(VALU_DEP_4) | instskip(NEXT) | instid1(VALU_DEP_4)
	v_add_nc_u32_e32 v6, v6, v1
	v_bfe_u32 v73, v72, 20, 1
	s_delay_alu instid0(VALU_DEP_4) | instskip(NEXT) | instid1(VALU_DEP_2)
	v_and_b32_e32 v5, v7, v5
	v_add_nc_u32_e32 v7, -1, v73
	s_delay_alu instid0(VALU_DEP_2) | instskip(SKIP_1) | instid1(VALU_DEP_1)
	v_cmp_eq_u32_e64 s0, v5, v74
	s_wait_alu 0xf1ff
	v_cndmask_b32_e64 v5, 0, v7, s0
	v_lshrrev_b32_e32 v7, 23, v72
	s_mov_b32 s0, exec_lo
	s_delay_alu instid0(VALU_DEP_2) | instskip(NEXT) | instid1(VALU_DEP_2)
	v_add_nc_u32_e32 v5, v5, v72
	v_xor_b32_e32 v7, 1, v7
	s_delay_alu instid0(VALU_DEP_2) | instskip(NEXT) | instid1(VALU_DEP_1)
	v_and_b32_e32 v1, 0xfffff, v5
	v_add_nc_u32_e32 v5, v1, v72
                                        ; implicit-def: $vgpr1
	s_delay_alu instid0(VALU_DEP_3)
	v_cmpx_ne_u32_e64 v6, v7
	s_wait_alu 0xfffe
	s_xor_b32 s0, exec_lo, s0
; %bb.275:
	s_delay_alu instid0(VALU_DEP_2) | instskip(SKIP_3) | instid1(VALU_DEP_2)
	v_cmp_lt_u32_e32 vcc_lo, 0xffffff, v5
	v_sub_nc_u32_e32 v1, v6, v7
	s_wait_alu 0xfffd
	v_cndmask_b32_e64 v6, 0, 1, vcc_lo
	v_add_co_ci_u32_e64 v1, null, 0, v1, vcc_lo
	s_delay_alu instid0(VALU_DEP_2)
	v_lshrrev_b32_e32 v5, v6, v5
; %bb.276:
	s_wait_alu 0xfffe
	s_and_not1_saveexec_b32 s0, s0
; %bb.277:
	s_delay_alu instid0(VALU_DEP_1)
	v_bfe_u32 v1, v5, 23, 1
; %bb.278:
	s_wait_alu 0xfffe
	s_or_b32 exec_lo, exec_lo, s0
	v_lshrrev_b32_e32 v5, 20, v5
	s_delay_alu instid0(VALU_DEP_2) | instskip(SKIP_3) | instid1(VALU_DEP_3)
	v_min_i32_e32 v6, 15, v1
	v_cmp_gt_i32_e32 vcc_lo, 16, v1
	v_lshrrev_b32_e32 v2, 24, v2
	s_wait_alu 0xfffd
	v_dual_cndmask_b32 v5, 7, v5 :: v_dual_lshlrev_b32 v6, 3, v6
	s_delay_alu instid0(VALU_DEP_2) | instskip(NEXT) | instid1(VALU_DEP_2)
	v_and_b32_e32 v2, 0x80, v2
	v_and_b32_e32 v6, 0xf8, v6
	s_delay_alu instid0(VALU_DEP_3) | instskip(SKIP_1) | instid1(VALU_DEP_2)
	v_and_b32_e32 v7, 7, v5
	v_or_b32_e32 v1, v1, v5
	v_or3_b32 v2, v2, v6, v7
	s_delay_alu instid0(VALU_DEP_2) | instskip(NEXT) | instid1(VALU_DEP_2)
	v_cmp_ne_u32_e32 vcc_lo, 0, v1
	v_lshlrev_b32_e32 v2, 16, v2
	s_wait_alu 0xfffd
	s_delay_alu instid0(VALU_DEP_1)
	v_cndmask_b32_e32 v77, 0, v2, vcc_lo
.LBB4_279:
	s_wait_alu 0xfffe
	s_or_b32 exec_lo, exec_lo, s6
.LBB4_280:
	s_wait_alu 0xfffe
	s_or_b32 exec_lo, exec_lo, s3
	v_and_b32_e32 v1, 0x7f800000, v3
	v_bfrev_b32_e32 v78, 1
	s_mov_b32 s3, exec_lo
	s_delay_alu instid0(VALU_DEP_2)
	v_cmpx_ne_u32_e32 0x7f800000, v1
	s_cbranch_execz .LBB4_288
; %bb.281:
	v_mov_b32_e32 v78, 0
	s_mov_b32 s6, exec_lo
	v_cmpx_ne_u32_e32 0, v3
	s_cbranch_execz .LBB4_287
; %bb.282:
	v_bfe_u32 v1, v3, 23, 8
	s_delay_alu instid0(VALU_DEP_1) | instskip(SKIP_2) | instid1(VALU_DEP_2)
	v_sub_nc_u32_e32 v5, 0x78, v1
	v_cmp_gt_u32_e32 vcc_lo, 0x79, v1
	s_wait_alu 0xfffd
	v_dual_cndmask_b32 v5, 0, v5 :: v_dual_and_b32 v2, 0x7fffff, v3
	s_delay_alu instid0(VALU_DEP_1) | instskip(SKIP_2) | instid1(VALU_DEP_2)
	v_or_b32_e32 v6, 0x800000, v2
	v_cmp_eq_u32_e32 vcc_lo, 0, v1
	s_wait_alu 0xfffd
	v_dual_cndmask_b32 v2, v6, v2 :: v_dual_add_nc_u32 v1, 0xffffff89, v1
	v_cndmask_b32_e64 v5, v5, 0x77, vcc_lo
	s_delay_alu instid0(VALU_DEP_2) | instskip(NEXT) | instid1(VALU_DEP_2)
	v_cndmask_b32_e64 v1, v1, 0xffffff8a, vcc_lo
	v_lshrrev_b32_e32 v7, v5, v2
	v_lshl_add_u32 v6, 0x100000, v5, -1
	v_lshlrev_b32_e64 v73, v5, 0x80000
	s_delay_alu instid0(VALU_DEP_4) | instskip(NEXT) | instid1(VALU_DEP_4)
	v_add_nc_u32_e32 v5, v5, v1
	v_bfe_u32 v72, v7, 20, 1
	s_delay_alu instid0(VALU_DEP_4) | instskip(NEXT) | instid1(VALU_DEP_2)
	v_and_b32_e32 v2, v6, v2
	v_add_nc_u32_e32 v6, -1, v72
	s_delay_alu instid0(VALU_DEP_2) | instskip(SKIP_1) | instid1(VALU_DEP_1)
	v_cmp_eq_u32_e64 s0, v2, v73
	s_wait_alu 0xf1ff
	v_cndmask_b32_e64 v2, 0, v6, s0
	v_lshrrev_b32_e32 v6, 23, v7
	s_mov_b32 s0, exec_lo
	s_delay_alu instid0(VALU_DEP_2) | instskip(NEXT) | instid1(VALU_DEP_2)
	v_add_nc_u32_e32 v2, v2, v7
	v_xor_b32_e32 v6, 1, v6
	s_delay_alu instid0(VALU_DEP_2) | instskip(NEXT) | instid1(VALU_DEP_1)
	v_and_b32_e32 v1, 0xfffff, v2
	v_add_nc_u32_e32 v2, v1, v7
                                        ; implicit-def: $vgpr1
	s_delay_alu instid0(VALU_DEP_3)
	v_cmpx_ne_u32_e64 v5, v6
	s_wait_alu 0xfffe
	s_xor_b32 s0, exec_lo, s0
; %bb.283:
	s_delay_alu instid0(VALU_DEP_2) | instskip(SKIP_3) | instid1(VALU_DEP_2)
	v_cmp_lt_u32_e32 vcc_lo, 0xffffff, v2
	v_sub_nc_u32_e32 v1, v5, v6
	s_wait_alu 0xfffd
	v_cndmask_b32_e64 v5, 0, 1, vcc_lo
	v_add_co_ci_u32_e64 v1, null, 0, v1, vcc_lo
	s_delay_alu instid0(VALU_DEP_2)
	v_lshrrev_b32_e32 v2, v5, v2
; %bb.284:
	s_wait_alu 0xfffe
	s_and_not1_saveexec_b32 s0, s0
; %bb.285:
	s_delay_alu instid0(VALU_DEP_1)
	v_bfe_u32 v1, v2, 23, 1
; %bb.286:
	s_wait_alu 0xfffe
	s_or_b32 exec_lo, exec_lo, s0
	v_lshrrev_b32_e32 v2, 20, v2
	s_delay_alu instid0(VALU_DEP_2) | instskip(SKIP_3) | instid1(VALU_DEP_2)
	v_cmp_gt_i32_e32 vcc_lo, 16, v1
	v_lshrrev_b32_e32 v3, 24, v3
	v_min_i32_e32 v5, 15, v1
	s_wait_alu 0xfffd
	v_dual_cndmask_b32 v2, 7, v2 :: v_dual_and_b32 v3, 0x80, v3
	s_delay_alu instid0(VALU_DEP_1) | instskip(SKIP_1) | instid1(VALU_DEP_2)
	v_or_b32_e32 v1, v1, v2
	v_and_b32_e32 v6, 7, v2
	v_cmp_ne_u32_e32 vcc_lo, 0, v1
	v_lshlrev_b32_e32 v5, 3, v5
	s_delay_alu instid0(VALU_DEP_1) | instskip(NEXT) | instid1(VALU_DEP_1)
	v_or3_b32 v3, v3, v5, v6
	v_lshlrev_b32_e32 v2, 24, v3
	s_wait_alu 0xfffd
	s_delay_alu instid0(VALU_DEP_1)
	v_cndmask_b32_e32 v78, 0, v2, vcc_lo
.LBB4_287:
	s_wait_alu 0xfffe
	s_or_b32 exec_lo, exec_lo, s6
.LBB4_288:
	s_wait_alu 0xfffe
	s_or_b32 exec_lo, exec_lo, s3
	ds_load_b128 v[72:75], v92 offset:16
	v_or_b32_e32 v79, v0, v4
	v_wmma_f32_16x16x16_fp8_fp8 v[0:7], v[68:69], v[28:29], 0
	v_dual_mov_b32 v69, 0x80 :: v_dual_add_nc_u32 v68, s2, v76
	s_delay_alu instid0(VALU_DEP_3)
	v_or3_b32 v76, v77, v79, v78
	s_mov_b32 s6, s1
	s_mov_b32 s3, exec_lo
	buffer_store_b32 v76, v68, s[4:7], null offen
	s_wait_dscnt 0x0
	v_and_b32_e32 v80, 0x7f800000, v72
	s_delay_alu instid0(VALU_DEP_1)
	v_cmpx_ne_u32_e32 0x7f800000, v80
	s_cbranch_execz .LBB4_296
; %bb.289:
	v_mov_b32_e32 v69, 0
	s_mov_b32 s6, exec_lo
	v_cmpx_ne_u32_e32 0, v72
	s_cbranch_execz .LBB4_295
; %bb.290:
	v_bfe_u32 v69, v72, 23, 8
	s_delay_alu instid0(VALU_DEP_1) | instskip(SKIP_2) | instid1(VALU_DEP_2)
	v_sub_nc_u32_e32 v77, 0x78, v69
	v_cmp_gt_u32_e32 vcc_lo, 0x79, v69
	s_wait_alu 0xfffd
	v_dual_cndmask_b32 v77, 0, v77 :: v_dual_and_b32 v76, 0x7fffff, v72
	s_delay_alu instid0(VALU_DEP_1) | instskip(SKIP_2) | instid1(VALU_DEP_2)
	v_or_b32_e32 v78, 0x800000, v76
	v_cmp_eq_u32_e32 vcc_lo, 0, v69
	s_wait_alu 0xfffd
	v_dual_cndmask_b32 v76, v78, v76 :: v_dual_add_nc_u32 v69, 0xffffff89, v69
	v_cndmask_b32_e64 v77, v77, 0x77, vcc_lo
	s_delay_alu instid0(VALU_DEP_2) | instskip(NEXT) | instid1(VALU_DEP_2)
	v_cndmask_b32_e64 v69, v69, 0xffffff8a, vcc_lo
	v_lshrrev_b32_e32 v79, v77, v76
	v_lshl_add_u32 v78, 0x100000, v77, -1
	v_lshlrev_b32_e64 v81, v77, 0x80000
	s_delay_alu instid0(VALU_DEP_4) | instskip(NEXT) | instid1(VALU_DEP_4)
	v_add_nc_u32_e32 v77, v77, v69
	v_bfe_u32 v80, v79, 20, 1
	s_delay_alu instid0(VALU_DEP_4) | instskip(NEXT) | instid1(VALU_DEP_2)
	v_and_b32_e32 v76, v78, v76
	v_add_nc_u32_e32 v78, -1, v80
	s_delay_alu instid0(VALU_DEP_2) | instskip(SKIP_1) | instid1(VALU_DEP_1)
	v_cmp_eq_u32_e64 s0, v76, v81
	s_wait_alu 0xf1ff
	v_cndmask_b32_e64 v76, 0, v78, s0
	v_lshrrev_b32_e32 v78, 23, v79
	s_mov_b32 s0, exec_lo
	s_delay_alu instid0(VALU_DEP_2) | instskip(NEXT) | instid1(VALU_DEP_2)
	v_add_nc_u32_e32 v76, v76, v79
	v_xor_b32_e32 v78, 1, v78
	s_delay_alu instid0(VALU_DEP_2) | instskip(NEXT) | instid1(VALU_DEP_1)
	v_and_b32_e32 v69, 0xfffff, v76
	v_add_nc_u32_e32 v76, v69, v79
                                        ; implicit-def: $vgpr69
	s_delay_alu instid0(VALU_DEP_3)
	v_cmpx_ne_u32_e64 v77, v78
	s_wait_alu 0xfffe
	s_xor_b32 s0, exec_lo, s0
; %bb.291:
	s_delay_alu instid0(VALU_DEP_2) | instskip(SKIP_3) | instid1(VALU_DEP_2)
	v_cmp_lt_u32_e32 vcc_lo, 0xffffff, v76
	v_sub_nc_u32_e32 v69, v77, v78
	s_wait_alu 0xfffd
	v_cndmask_b32_e64 v77, 0, 1, vcc_lo
	v_add_co_ci_u32_e64 v69, null, 0, v69, vcc_lo
	s_delay_alu instid0(VALU_DEP_2)
	v_lshrrev_b32_e32 v76, v77, v76
; %bb.292:
	s_wait_alu 0xfffe
	s_and_not1_saveexec_b32 s0, s0
; %bb.293:
	s_delay_alu instid0(VALU_DEP_1)
	v_bfe_u32 v69, v76, 23, 1
; %bb.294:
	s_wait_alu 0xfffe
	s_or_b32 exec_lo, exec_lo, s0
	v_lshrrev_b32_e32 v76, 20, v76
	s_delay_alu instid0(VALU_DEP_2) | instskip(SKIP_3) | instid1(VALU_DEP_3)
	v_min_i32_e32 v77, 15, v69
	v_cmp_gt_i32_e32 vcc_lo, 16, v69
	v_lshrrev_b32_e32 v72, 24, v72
	s_wait_alu 0xfffd
	v_dual_cndmask_b32 v76, 7, v76 :: v_dual_lshlrev_b32 v77, 3, v77
	s_delay_alu instid0(VALU_DEP_2) | instskip(NEXT) | instid1(VALU_DEP_2)
	v_and_b32_e32 v72, 0x80, v72
	v_and_b32_e32 v77, 0xf8, v77
	s_delay_alu instid0(VALU_DEP_3) | instskip(SKIP_1) | instid1(VALU_DEP_2)
	v_and_b32_e32 v78, 7, v76
	v_or_b32_e32 v69, v69, v76
	v_or3_b32 v72, v77, v72, v78
	s_delay_alu instid0(VALU_DEP_2) | instskip(SKIP_1) | instid1(VALU_DEP_2)
	v_cmp_ne_u32_e32 vcc_lo, 0, v69
	s_wait_alu 0xfffd
	v_cndmask_b32_e32 v69, 0, v72, vcc_lo
.LBB4_295:
	s_wait_alu 0xfffe
	s_or_b32 exec_lo, exec_lo, s6
.LBB4_296:
	s_delay_alu instid0(SALU_CYCLE_1) | instskip(SKIP_4) | instid1(VALU_DEP_3)
	s_or_b32 exec_lo, exec_lo, s3
	v_and_b32_e32 v72, 0x7f800000, v73
	v_wmma_f32_16x16x16_fp8_fp8 v[0:7], v[70:71], v[30:31], v[0:7]
	v_mov_b32_e32 v70, 0x8000
	s_mov_b32 s3, exec_lo
	v_cmpx_ne_u32_e32 0x7f800000, v72
	s_cbranch_execz .LBB4_304
; %bb.297:
	v_mov_b32_e32 v70, 0
	s_mov_b32 s6, exec_lo
	v_cmpx_ne_u32_e32 0, v73
	s_cbranch_execz .LBB4_303
; %bb.298:
	v_bfe_u32 v70, v73, 23, 8
	s_delay_alu instid0(VALU_DEP_1) | instskip(SKIP_2) | instid1(VALU_DEP_2)
	v_sub_nc_u32_e32 v72, 0x78, v70
	v_cmp_gt_u32_e32 vcc_lo, 0x79, v70
	s_wait_alu 0xfffd
	v_dual_cndmask_b32 v72, 0, v72 :: v_dual_and_b32 v71, 0x7fffff, v73
	s_delay_alu instid0(VALU_DEP_1)
	v_or_b32_e32 v76, 0x800000, v71
	v_cmp_eq_u32_e32 vcc_lo, 0, v70
	v_add_nc_u32_e32 v70, 0xffffff89, v70
	s_wait_alu 0xfffd
	v_cndmask_b32_e64 v72, v72, 0x77, vcc_lo
	v_cndmask_b32_e32 v71, v76, v71, vcc_lo
	s_delay_alu instid0(VALU_DEP_3) | instskip(NEXT) | instid1(VALU_DEP_3)
	v_cndmask_b32_e64 v70, v70, 0xffffff8a, vcc_lo
	v_lshl_add_u32 v76, 0x100000, v72, -1
	s_delay_alu instid0(VALU_DEP_3) | instskip(SKIP_1) | instid1(VALU_DEP_4)
	v_lshrrev_b32_e32 v77, v72, v71
	v_lshlrev_b32_e64 v79, v72, 0x80000
	v_add_nc_u32_e32 v72, v72, v70
	s_delay_alu instid0(VALU_DEP_4) | instskip(NEXT) | instid1(VALU_DEP_4)
	v_and_b32_e32 v71, v76, v71
	v_bfe_u32 v78, v77, 20, 1
	s_delay_alu instid0(VALU_DEP_2) | instskip(NEXT) | instid1(VALU_DEP_2)
	v_cmp_eq_u32_e64 s0, v71, v79
	v_add_nc_u32_e32 v76, -1, v78
	s_wait_alu 0xf1ff
	s_delay_alu instid0(VALU_DEP_1) | instskip(SKIP_2) | instid1(VALU_DEP_2)
	v_cndmask_b32_e64 v71, 0, v76, s0
	v_lshrrev_b32_e32 v76, 23, v77
	s_mov_b32 s0, exec_lo
	v_add_nc_u32_e32 v71, v71, v77
	s_delay_alu instid0(VALU_DEP_2) | instskip(NEXT) | instid1(VALU_DEP_2)
	v_xor_b32_e32 v76, 1, v76
	v_and_b32_e32 v70, 0xfffff, v71
	s_delay_alu instid0(VALU_DEP_1) | instskip(NEXT) | instid1(VALU_DEP_3)
	v_add_nc_u32_e32 v71, v70, v77
                                        ; implicit-def: $vgpr70
	v_cmpx_ne_u32_e64 v72, v76
	s_wait_alu 0xfffe
	s_xor_b32 s0, exec_lo, s0
; %bb.299:
	s_delay_alu instid0(VALU_DEP_2) | instskip(SKIP_3) | instid1(VALU_DEP_2)
	v_cmp_lt_u32_e32 vcc_lo, 0xffffff, v71
	v_sub_nc_u32_e32 v70, v72, v76
	s_wait_alu 0xfffd
	v_cndmask_b32_e64 v72, 0, 1, vcc_lo
	v_add_co_ci_u32_e64 v70, null, 0, v70, vcc_lo
	s_delay_alu instid0(VALU_DEP_2)
	v_lshrrev_b32_e32 v71, v72, v71
; %bb.300:
	s_wait_alu 0xfffe
	s_and_not1_saveexec_b32 s0, s0
; %bb.301:
	s_delay_alu instid0(VALU_DEP_1)
	v_bfe_u32 v70, v71, 23, 1
; %bb.302:
	s_wait_alu 0xfffe
	s_or_b32 exec_lo, exec_lo, s0
	v_lshrrev_b32_e32 v71, 20, v71
	s_delay_alu instid0(VALU_DEP_2) | instskip(SKIP_3) | instid1(VALU_DEP_2)
	v_cmp_gt_i32_e32 vcc_lo, 16, v70
	v_min_i32_e32 v72, 15, v70
	v_lshrrev_b32_e32 v73, 24, v73
	s_wait_alu 0xfffd
	v_dual_cndmask_b32 v71, 7, v71 :: v_dual_lshlrev_b32 v72, 3, v72
	s_delay_alu instid0(VALU_DEP_1) | instskip(SKIP_1) | instid1(VALU_DEP_3)
	v_or_b32_e32 v70, v70, v71
	v_and_b32_e32 v76, 7, v71
	v_and_b32_e32 v72, 0xf8, v72
	s_delay_alu instid0(VALU_DEP_3) | instskip(SKIP_1) | instid1(VALU_DEP_1)
	v_cmp_ne_u32_e32 vcc_lo, 0, v70
	v_and_b32_e32 v73, 0x80, v73
	v_or3_b32 v72, v73, v72, v76
	s_delay_alu instid0(VALU_DEP_1) | instskip(SKIP_1) | instid1(VALU_DEP_1)
	v_lshlrev_b32_e32 v71, 8, v72
	s_wait_alu 0xfffd
	v_cndmask_b32_e32 v70, 0, v71, vcc_lo
.LBB4_303:
	s_wait_alu 0xfffe
	s_or_b32 exec_lo, exec_lo, s6
.LBB4_304:
	s_wait_alu 0xfffe
	s_or_b32 exec_lo, exec_lo, s3
	v_and_b32_e32 v71, 0x7f800000, v74
	v_wmma_f32_16x16x16_fp8_fp8 v[0:7], v[64:65], v[24:25], v[0:7]
	v_mov_b32_e32 v64, 0x800000
	s_mov_b32 s3, exec_lo
	s_delay_alu instid0(VALU_DEP_3)
	v_cmpx_ne_u32_e32 0x7f800000, v71
	s_cbranch_execz .LBB4_312
; %bb.305:
	v_mov_b32_e32 v64, 0
	s_mov_b32 s6, exec_lo
	v_cmpx_ne_u32_e32 0, v74
	s_cbranch_execz .LBB4_311
; %bb.306:
	v_bfe_u32 v64, v74, 23, 8
	v_and_b32_e32 v65, 0x7fffff, v74
	s_delay_alu instid0(VALU_DEP_2) | instskip(SKIP_1) | instid1(VALU_DEP_3)
	v_sub_nc_u32_e32 v71, 0x78, v64
	v_cmp_gt_u32_e32 vcc_lo, 0x79, v64
	v_or_b32_e32 v72, 0x800000, v65
	s_wait_alu 0xfffd
	s_delay_alu instid0(VALU_DEP_3) | instskip(SKIP_3) | instid1(VALU_DEP_3)
	v_cndmask_b32_e32 v71, 0, v71, vcc_lo
	v_cmp_eq_u32_e32 vcc_lo, 0, v64
	s_wait_alu 0xfffd
	v_dual_cndmask_b32 v65, v72, v65 :: v_dual_add_nc_u32 v64, 0xffffff89, v64
	v_cndmask_b32_e64 v71, v71, 0x77, vcc_lo
	s_delay_alu instid0(VALU_DEP_2) | instskip(NEXT) | instid1(VALU_DEP_2)
	v_cndmask_b32_e64 v64, v64, 0xffffff8a, vcc_lo
	v_lshrrev_b32_e32 v73, v71, v65
	v_lshl_add_u32 v72, 0x100000, v71, -1
	v_lshlrev_b32_e64 v77, v71, 0x80000
	s_delay_alu instid0(VALU_DEP_4) | instskip(NEXT) | instid1(VALU_DEP_4)
	v_add_nc_u32_e32 v71, v71, v64
	v_bfe_u32 v76, v73, 20, 1
	s_delay_alu instid0(VALU_DEP_4) | instskip(NEXT) | instid1(VALU_DEP_2)
	v_and_b32_e32 v65, v72, v65
	v_add_nc_u32_e32 v72, -1, v76
	s_delay_alu instid0(VALU_DEP_2) | instskip(SKIP_1) | instid1(VALU_DEP_1)
	v_cmp_eq_u32_e64 s0, v65, v77
	s_wait_alu 0xf1ff
	v_cndmask_b32_e64 v65, 0, v72, s0
	v_lshrrev_b32_e32 v72, 23, v73
	s_mov_b32 s0, exec_lo
	s_delay_alu instid0(VALU_DEP_2) | instskip(NEXT) | instid1(VALU_DEP_2)
	v_add_nc_u32_e32 v65, v65, v73
	v_xor_b32_e32 v72, 1, v72
	s_delay_alu instid0(VALU_DEP_2) | instskip(NEXT) | instid1(VALU_DEP_1)
	v_and_b32_e32 v64, 0xfffff, v65
	v_add_nc_u32_e32 v65, v64, v73
                                        ; implicit-def: $vgpr64
	s_delay_alu instid0(VALU_DEP_3)
	v_cmpx_ne_u32_e64 v71, v72
	s_wait_alu 0xfffe
	s_xor_b32 s0, exec_lo, s0
; %bb.307:
	s_delay_alu instid0(VALU_DEP_2) | instskip(SKIP_3) | instid1(VALU_DEP_2)
	v_cmp_lt_u32_e32 vcc_lo, 0xffffff, v65
	v_sub_nc_u32_e32 v64, v71, v72
	s_wait_alu 0xfffd
	v_cndmask_b32_e64 v71, 0, 1, vcc_lo
	v_add_co_ci_u32_e64 v64, null, 0, v64, vcc_lo
	s_delay_alu instid0(VALU_DEP_2)
	v_lshrrev_b32_e32 v65, v71, v65
; %bb.308:
	s_wait_alu 0xfffe
	s_and_not1_saveexec_b32 s0, s0
; %bb.309:
	s_delay_alu instid0(VALU_DEP_1)
	v_bfe_u32 v64, v65, 23, 1
; %bb.310:
	s_wait_alu 0xfffe
	s_or_b32 exec_lo, exec_lo, s0
	v_lshrrev_b32_e32 v65, 20, v65
	s_delay_alu instid0(VALU_DEP_2) | instskip(SKIP_3) | instid1(VALU_DEP_2)
	v_cmp_gt_i32_e32 vcc_lo, 16, v64
	v_lshrrev_b32_e32 v72, 24, v74
	v_min_i32_e32 v71, 15, v64
	s_wait_alu 0xfffd
	v_dual_cndmask_b32 v65, 7, v65 :: v_dual_and_b32 v72, 0x80, v72
	s_delay_alu instid0(VALU_DEP_1) | instskip(SKIP_1) | instid1(VALU_DEP_2)
	v_or_b32_e32 v64, v64, v65
	v_and_b32_e32 v73, 7, v65
	v_cmp_ne_u32_e32 vcc_lo, 0, v64
	v_lshlrev_b32_e32 v71, 3, v71
	s_delay_alu instid0(VALU_DEP_1) | instskip(NEXT) | instid1(VALU_DEP_1)
	v_and_b32_e32 v71, 0xf8, v71
	v_or3_b32 v71, v72, v71, v73
	s_delay_alu instid0(VALU_DEP_1) | instskip(SKIP_1) | instid1(VALU_DEP_1)
	v_lshlrev_b32_e32 v65, 16, v71
	s_wait_alu 0xfffd
	v_cndmask_b32_e32 v64, 0, v65, vcc_lo
.LBB4_311:
	s_wait_alu 0xfffe
	s_or_b32 exec_lo, exec_lo, s6
.LBB4_312:
	s_wait_alu 0xfffe
	s_or_b32 exec_lo, exec_lo, s3
	v_and_b32_e32 v65, 0x7f800000, v75
	v_wmma_f32_16x16x16_fp8_fp8 v[0:7], v[66:67], v[26:27], v[0:7]
	s_delay_alu instid0(VALU_DEP_2)
	v_cmp_ne_u32_e32 vcc_lo, 0x7f800000, v65
	v_bfrev_b32_e32 v65, 1
	s_and_saveexec_b32 s3, vcc_lo
	s_cbranch_execz .LBB4_320
; %bb.313:
	v_mov_b32_e32 v65, 0
	s_mov_b32 s6, exec_lo
	v_cmpx_ne_u32_e32 0, v75
	s_cbranch_execz .LBB4_319
; %bb.314:
	v_bfe_u32 v65, v75, 23, 8
	v_and_b32_e32 v66, 0x7fffff, v75
	s_delay_alu instid0(VALU_DEP_2) | instskip(SKIP_1) | instid1(VALU_DEP_3)
	v_sub_nc_u32_e32 v67, 0x78, v65
	v_cmp_gt_u32_e32 vcc_lo, 0x79, v65
	v_or_b32_e32 v71, 0x800000, v66
	s_wait_alu 0xfffd
	s_delay_alu instid0(VALU_DEP_3) | instskip(SKIP_3) | instid1(VALU_DEP_3)
	v_cndmask_b32_e32 v67, 0, v67, vcc_lo
	v_cmp_eq_u32_e32 vcc_lo, 0, v65
	s_wait_alu 0xfffd
	v_dual_cndmask_b32 v66, v71, v66 :: v_dual_add_nc_u32 v65, 0xffffff89, v65
	v_cndmask_b32_e64 v67, v67, 0x77, vcc_lo
	s_delay_alu instid0(VALU_DEP_2) | instskip(NEXT) | instid1(VALU_DEP_2)
	v_cndmask_b32_e64 v65, v65, 0xffffff8a, vcc_lo
	v_lshrrev_b32_e32 v72, v67, v66
	v_lshl_add_u32 v71, 0x100000, v67, -1
	v_lshlrev_b32_e64 v74, v67, 0x80000
	s_delay_alu instid0(VALU_DEP_4) | instskip(NEXT) | instid1(VALU_DEP_4)
	v_add_nc_u32_e32 v67, v67, v65
	v_bfe_u32 v73, v72, 20, 1
	s_delay_alu instid0(VALU_DEP_4) | instskip(NEXT) | instid1(VALU_DEP_2)
	v_and_b32_e32 v66, v71, v66
	v_add_nc_u32_e32 v71, -1, v73
	s_delay_alu instid0(VALU_DEP_2) | instskip(SKIP_1) | instid1(VALU_DEP_1)
	v_cmp_eq_u32_e64 s0, v66, v74
	s_wait_alu 0xf1ff
	v_cndmask_b32_e64 v66, 0, v71, s0
	v_lshrrev_b32_e32 v71, 23, v72
	s_mov_b32 s0, exec_lo
	s_delay_alu instid0(VALU_DEP_2) | instskip(NEXT) | instid1(VALU_DEP_2)
	v_add_nc_u32_e32 v66, v66, v72
	v_xor_b32_e32 v71, 1, v71
	s_delay_alu instid0(VALU_DEP_2) | instskip(NEXT) | instid1(VALU_DEP_1)
	v_and_b32_e32 v65, 0xfffff, v66
	v_add_nc_u32_e32 v66, v65, v72
                                        ; implicit-def: $vgpr65
	s_delay_alu instid0(VALU_DEP_3)
	v_cmpx_ne_u32_e64 v67, v71
	s_wait_alu 0xfffe
	s_xor_b32 s0, exec_lo, s0
; %bb.315:
	s_delay_alu instid0(VALU_DEP_2) | instskip(SKIP_3) | instid1(VALU_DEP_2)
	v_cmp_lt_u32_e32 vcc_lo, 0xffffff, v66
	v_sub_nc_u32_e32 v65, v67, v71
	s_wait_alu 0xfffd
	v_cndmask_b32_e64 v67, 0, 1, vcc_lo
	v_add_co_ci_u32_e64 v65, null, 0, v65, vcc_lo
	s_delay_alu instid0(VALU_DEP_2)
	v_lshrrev_b32_e32 v66, v67, v66
; %bb.316:
	s_wait_alu 0xfffe
	s_and_not1_saveexec_b32 s0, s0
; %bb.317:
	s_delay_alu instid0(VALU_DEP_1)
	v_bfe_u32 v65, v66, 23, 1
; %bb.318:
	s_wait_alu 0xfffe
	s_or_b32 exec_lo, exec_lo, s0
	v_lshrrev_b32_e32 v66, 20, v66
	s_delay_alu instid0(VALU_DEP_2) | instskip(SKIP_3) | instid1(VALU_DEP_2)
	v_cmp_gt_i32_e32 vcc_lo, 16, v65
	v_lshrrev_b32_e32 v67, 24, v75
	v_min_i32_e32 v71, 15, v65
	s_wait_alu 0xfffd
	v_dual_cndmask_b32 v66, 7, v66 :: v_dual_and_b32 v67, 0x80, v67
	s_delay_alu instid0(VALU_DEP_2) | instskip(NEXT) | instid1(VALU_DEP_2)
	v_lshlrev_b32_e32 v71, 3, v71
	v_and_b32_e32 v72, 7, v66
	v_or_b32_e32 v65, v65, v66
	s_delay_alu instid0(VALU_DEP_2) | instskip(NEXT) | instid1(VALU_DEP_2)
	v_or3_b32 v67, v67, v71, v72
	v_cmp_ne_u32_e32 vcc_lo, 0, v65
	s_delay_alu instid0(VALU_DEP_2) | instskip(SKIP_1) | instid1(VALU_DEP_1)
	v_lshlrev_b32_e32 v66, 24, v67
	s_wait_alu 0xfffd
	v_cndmask_b32_e32 v65, 0, v66, vcc_lo
.LBB4_319:
	s_wait_alu 0xfffe
	s_or_b32 exec_lo, exec_lo, s6
.LBB4_320:
	s_wait_alu 0xfffe
	s_or_b32 exec_lo, exec_lo, s3
	v_or_b32_e32 v66, v70, v69
	s_mov_b32 s6, s1
	s_delay_alu instid0(VALU_DEP_1)
	v_or3_b32 v64, v64, v66, v65
	buffer_store_b32 v64, v68, s[4:7], null offen offset:4
	s_wait_dscnt 0x0
	s_barrier_signal -1
	s_barrier_wait -1
	ds_store_2addr_stride64_b32 v93, v0, v1 offset1:1
	ds_store_2addr_stride64_b32 v93, v2, v3 offset0:2 offset1:3
	ds_store_2addr_stride64_b32 v93, v4, v5 offset0:4 offset1:5
	;; [unrolled: 1-line block ×3, first 2 shown]
	s_wait_dscnt 0x0
	s_barrier_signal -1
	s_barrier_wait -1
	ds_load_b128 v[0:3], v92
	s_wait_dscnt 0x0
	v_and_b32_e32 v4, 0x7f800000, v0
	s_delay_alu instid0(VALU_DEP_1)
	v_cmp_ne_u32_e32 vcc_lo, 0x7f800000, v4
	v_mov_b32_e32 v4, 0x80
	s_and_saveexec_b32 s3, vcc_lo
	s_cbranch_execz .LBB4_328
; %bb.321:
	v_mov_b32_e32 v4, 0
	s_mov_b32 s6, exec_lo
	v_cmpx_ne_u32_e32 0, v0
	s_cbranch_execz .LBB4_327
; %bb.322:
	v_bfe_u32 v4, v0, 23, 8
	s_delay_alu instid0(VALU_DEP_1) | instskip(SKIP_2) | instid1(VALU_DEP_2)
	v_sub_nc_u32_e32 v6, 0x78, v4
	v_cmp_gt_u32_e32 vcc_lo, 0x79, v4
	s_wait_alu 0xfffd
	v_dual_cndmask_b32 v6, 0, v6 :: v_dual_and_b32 v5, 0x7fffff, v0
	s_delay_alu instid0(VALU_DEP_1) | instskip(SKIP_2) | instid1(VALU_DEP_2)
	v_or_b32_e32 v7, 0x800000, v5
	v_cmp_eq_u32_e32 vcc_lo, 0, v4
	s_wait_alu 0xfffd
	v_dual_cndmask_b32 v5, v7, v5 :: v_dual_add_nc_u32 v4, 0xffffff89, v4
	v_cndmask_b32_e64 v6, v6, 0x77, vcc_lo
	s_delay_alu instid0(VALU_DEP_2) | instskip(NEXT) | instid1(VALU_DEP_2)
	v_cndmask_b32_e64 v4, v4, 0xffffff8a, vcc_lo
	v_lshrrev_b32_e32 v64, v6, v5
	v_lshl_add_u32 v7, 0x100000, v6, -1
	v_lshlrev_b32_e64 v66, v6, 0x80000
	s_delay_alu instid0(VALU_DEP_4) | instskip(NEXT) | instid1(VALU_DEP_4)
	v_add_nc_u32_e32 v6, v6, v4
	v_bfe_u32 v65, v64, 20, 1
	s_delay_alu instid0(VALU_DEP_4) | instskip(NEXT) | instid1(VALU_DEP_2)
	v_and_b32_e32 v5, v7, v5
	v_add_nc_u32_e32 v7, -1, v65
	s_delay_alu instid0(VALU_DEP_2) | instskip(SKIP_1) | instid1(VALU_DEP_1)
	v_cmp_eq_u32_e64 s0, v5, v66
	s_wait_alu 0xf1ff
	v_cndmask_b32_e64 v5, 0, v7, s0
	v_lshrrev_b32_e32 v7, 23, v64
	s_mov_b32 s0, exec_lo
	s_delay_alu instid0(VALU_DEP_2) | instskip(NEXT) | instid1(VALU_DEP_2)
	v_add_nc_u32_e32 v5, v5, v64
	v_xor_b32_e32 v7, 1, v7
	s_delay_alu instid0(VALU_DEP_2) | instskip(NEXT) | instid1(VALU_DEP_1)
	v_and_b32_e32 v4, 0xfffff, v5
	v_add_nc_u32_e32 v5, v4, v64
                                        ; implicit-def: $vgpr4
	s_delay_alu instid0(VALU_DEP_3)
	v_cmpx_ne_u32_e64 v6, v7
	s_wait_alu 0xfffe
	s_xor_b32 s0, exec_lo, s0
; %bb.323:
	s_delay_alu instid0(VALU_DEP_2) | instskip(SKIP_3) | instid1(VALU_DEP_2)
	v_cmp_lt_u32_e32 vcc_lo, 0xffffff, v5
	v_sub_nc_u32_e32 v4, v6, v7
	s_wait_alu 0xfffd
	v_cndmask_b32_e64 v6, 0, 1, vcc_lo
	v_add_co_ci_u32_e64 v4, null, 0, v4, vcc_lo
	s_delay_alu instid0(VALU_DEP_2)
	v_lshrrev_b32_e32 v5, v6, v5
; %bb.324:
	s_wait_alu 0xfffe
	s_and_not1_saveexec_b32 s0, s0
; %bb.325:
	s_delay_alu instid0(VALU_DEP_1)
	v_bfe_u32 v4, v5, 23, 1
; %bb.326:
	s_wait_alu 0xfffe
	s_or_b32 exec_lo, exec_lo, s0
	v_lshrrev_b32_e32 v5, 20, v5
	s_delay_alu instid0(VALU_DEP_2) | instskip(SKIP_3) | instid1(VALU_DEP_2)
	v_cmp_gt_i32_e32 vcc_lo, 16, v4
	v_min_i32_e32 v6, 15, v4
	v_lshrrev_b32_e32 v0, 24, v0
	s_wait_alu 0xfffd
	v_dual_cndmask_b32 v5, 7, v5 :: v_dual_lshlrev_b32 v6, 3, v6
	s_delay_alu instid0(VALU_DEP_2) | instskip(NEXT) | instid1(VALU_DEP_2)
	v_and_b32_e32 v0, 0x80, v0
	v_or_b32_e32 v4, v4, v5
	s_delay_alu instid0(VALU_DEP_3) | instskip(NEXT) | instid1(VALU_DEP_2)
	v_and_b32_e32 v6, 0xf8, v6
	v_cmp_ne_u32_e32 vcc_lo, 0, v4
	v_and_b32_e32 v7, 7, v5
	s_delay_alu instid0(VALU_DEP_1) | instskip(SKIP_1) | instid1(VALU_DEP_1)
	v_or3_b32 v0, v6, v0, v7
	s_wait_alu 0xfffd
	v_cndmask_b32_e32 v4, 0, v0, vcc_lo
.LBB4_327:
	s_wait_alu 0xfffe
	s_or_b32 exec_lo, exec_lo, s6
.LBB4_328:
	s_wait_alu 0xfffe
	s_or_b32 exec_lo, exec_lo, s3
	v_and_b32_e32 v0, 0x7f800000, v1
	s_delay_alu instid0(VALU_DEP_1)
	v_cmp_ne_u32_e32 vcc_lo, 0x7f800000, v0
	v_mov_b32_e32 v0, 0x8000
	s_and_saveexec_b32 s3, vcc_lo
	s_cbranch_execz .LBB4_336
; %bb.329:
	v_mov_b32_e32 v0, 0
	s_mov_b32 s6, exec_lo
	v_cmpx_ne_u32_e32 0, v1
	s_cbranch_execz .LBB4_335
; %bb.330:
	v_bfe_u32 v0, v1, 23, 8
	s_delay_alu instid0(VALU_DEP_1) | instskip(SKIP_2) | instid1(VALU_DEP_2)
	v_sub_nc_u32_e32 v6, 0x78, v0
	v_cmp_gt_u32_e32 vcc_lo, 0x79, v0
	s_wait_alu 0xfffd
	v_dual_cndmask_b32 v6, 0, v6 :: v_dual_and_b32 v5, 0x7fffff, v1
	s_delay_alu instid0(VALU_DEP_1) | instskip(SKIP_2) | instid1(VALU_DEP_2)
	v_or_b32_e32 v7, 0x800000, v5
	v_cmp_eq_u32_e32 vcc_lo, 0, v0
	s_wait_alu 0xfffd
	v_dual_cndmask_b32 v5, v7, v5 :: v_dual_add_nc_u32 v0, 0xffffff89, v0
	v_cndmask_b32_e64 v6, v6, 0x77, vcc_lo
	s_delay_alu instid0(VALU_DEP_2) | instskip(NEXT) | instid1(VALU_DEP_2)
	v_cndmask_b32_e64 v0, v0, 0xffffff8a, vcc_lo
	v_lshrrev_b32_e32 v64, v6, v5
	v_lshl_add_u32 v7, 0x100000, v6, -1
	v_lshlrev_b32_e64 v66, v6, 0x80000
	s_delay_alu instid0(VALU_DEP_4) | instskip(NEXT) | instid1(VALU_DEP_4)
	v_add_nc_u32_e32 v6, v6, v0
	v_bfe_u32 v65, v64, 20, 1
	s_delay_alu instid0(VALU_DEP_4) | instskip(NEXT) | instid1(VALU_DEP_2)
	v_and_b32_e32 v5, v7, v5
	v_add_nc_u32_e32 v7, -1, v65
	s_delay_alu instid0(VALU_DEP_2) | instskip(SKIP_1) | instid1(VALU_DEP_1)
	v_cmp_eq_u32_e64 s0, v5, v66
	s_wait_alu 0xf1ff
	v_cndmask_b32_e64 v5, 0, v7, s0
	v_lshrrev_b32_e32 v7, 23, v64
	s_mov_b32 s0, exec_lo
	s_delay_alu instid0(VALU_DEP_2) | instskip(NEXT) | instid1(VALU_DEP_2)
	v_add_nc_u32_e32 v5, v5, v64
	v_xor_b32_e32 v7, 1, v7
	s_delay_alu instid0(VALU_DEP_2) | instskip(NEXT) | instid1(VALU_DEP_1)
	v_and_b32_e32 v0, 0xfffff, v5
	v_add_nc_u32_e32 v5, v0, v64
                                        ; implicit-def: $vgpr0
	s_delay_alu instid0(VALU_DEP_3)
	v_cmpx_ne_u32_e64 v6, v7
	s_wait_alu 0xfffe
	s_xor_b32 s0, exec_lo, s0
; %bb.331:
	s_delay_alu instid0(VALU_DEP_2) | instskip(SKIP_3) | instid1(VALU_DEP_2)
	v_cmp_lt_u32_e32 vcc_lo, 0xffffff, v5
	v_sub_nc_u32_e32 v0, v6, v7
	s_wait_alu 0xfffd
	v_cndmask_b32_e64 v6, 0, 1, vcc_lo
	v_add_co_ci_u32_e64 v0, null, 0, v0, vcc_lo
	s_delay_alu instid0(VALU_DEP_2)
	v_lshrrev_b32_e32 v5, v6, v5
; %bb.332:
	s_wait_alu 0xfffe
	s_and_not1_saveexec_b32 s0, s0
; %bb.333:
	s_delay_alu instid0(VALU_DEP_1)
	v_bfe_u32 v0, v5, 23, 1
; %bb.334:
	s_wait_alu 0xfffe
	s_or_b32 exec_lo, exec_lo, s0
	v_lshrrev_b32_e32 v5, 20, v5
	s_delay_alu instid0(VALU_DEP_2) | instskip(SKIP_3) | instid1(VALU_DEP_3)
	v_min_i32_e32 v6, 15, v0
	v_cmp_gt_i32_e32 vcc_lo, 16, v0
	v_lshrrev_b32_e32 v1, 24, v1
	s_wait_alu 0xfffd
	v_dual_cndmask_b32 v5, 7, v5 :: v_dual_lshlrev_b32 v6, 3, v6
	s_delay_alu instid0(VALU_DEP_2) | instskip(NEXT) | instid1(VALU_DEP_2)
	v_and_b32_e32 v1, 0x80, v1
	v_and_b32_e32 v6, 0xf8, v6
	s_delay_alu instid0(VALU_DEP_3) | instskip(SKIP_1) | instid1(VALU_DEP_2)
	v_and_b32_e32 v7, 7, v5
	v_or_b32_e32 v0, v0, v5
	v_or3_b32 v1, v1, v6, v7
	s_delay_alu instid0(VALU_DEP_2) | instskip(NEXT) | instid1(VALU_DEP_2)
	v_cmp_ne_u32_e32 vcc_lo, 0, v0
	v_lshlrev_b32_e32 v1, 8, v1
	s_wait_alu 0xfffd
	s_delay_alu instid0(VALU_DEP_1)
	v_cndmask_b32_e32 v0, 0, v1, vcc_lo
.LBB4_335:
	s_wait_alu 0xfffe
	s_or_b32 exec_lo, exec_lo, s6
.LBB4_336:
	s_wait_alu 0xfffe
	s_or_b32 exec_lo, exec_lo, s3
	v_and_b32_e32 v1, 0x7f800000, v2
	v_mov_b32_e32 v69, 0x800000
	s_mov_b32 s3, exec_lo
	s_delay_alu instid0(VALU_DEP_2)
	v_cmpx_ne_u32_e32 0x7f800000, v1
	s_cbranch_execz .LBB4_344
; %bb.337:
	v_mov_b32_e32 v69, 0
	s_mov_b32 s6, exec_lo
	v_cmpx_ne_u32_e32 0, v2
	s_cbranch_execz .LBB4_343
; %bb.338:
	v_bfe_u32 v1, v2, 23, 8
	v_and_b32_e32 v5, 0x7fffff, v2
	s_delay_alu instid0(VALU_DEP_2) | instskip(SKIP_1) | instid1(VALU_DEP_3)
	v_sub_nc_u32_e32 v6, 0x78, v1
	v_cmp_gt_u32_e32 vcc_lo, 0x79, v1
	v_or_b32_e32 v7, 0x800000, v5
	s_wait_alu 0xfffd
	s_delay_alu instid0(VALU_DEP_3)
	v_cndmask_b32_e32 v6, 0, v6, vcc_lo
	v_cmp_eq_u32_e32 vcc_lo, 0, v1
	v_add_nc_u32_e32 v1, 0xffffff89, v1
	s_wait_alu 0xfffd
	v_cndmask_b32_e32 v5, v7, v5, vcc_lo
	v_cndmask_b32_e64 v6, v6, 0x77, vcc_lo
	s_delay_alu instid0(VALU_DEP_3) | instskip(NEXT) | instid1(VALU_DEP_2)
	v_cndmask_b32_e64 v1, v1, 0xffffff8a, vcc_lo
	v_lshrrev_b32_e32 v64, v6, v5
	v_lshl_add_u32 v7, 0x100000, v6, -1
	v_lshlrev_b32_e64 v66, v6, 0x80000
	s_delay_alu instid0(VALU_DEP_4) | instskip(NEXT) | instid1(VALU_DEP_4)
	v_add_nc_u32_e32 v6, v6, v1
	v_bfe_u32 v65, v64, 20, 1
	s_delay_alu instid0(VALU_DEP_4) | instskip(NEXT) | instid1(VALU_DEP_2)
	v_and_b32_e32 v5, v7, v5
	v_add_nc_u32_e32 v7, -1, v65
	s_delay_alu instid0(VALU_DEP_2) | instskip(SKIP_1) | instid1(VALU_DEP_1)
	v_cmp_eq_u32_e64 s0, v5, v66
	s_wait_alu 0xf1ff
	v_cndmask_b32_e64 v5, 0, v7, s0
	v_lshrrev_b32_e32 v7, 23, v64
	s_mov_b32 s0, exec_lo
	s_delay_alu instid0(VALU_DEP_2) | instskip(NEXT) | instid1(VALU_DEP_2)
	v_add_nc_u32_e32 v5, v5, v64
	v_xor_b32_e32 v7, 1, v7
	s_delay_alu instid0(VALU_DEP_2) | instskip(NEXT) | instid1(VALU_DEP_1)
	v_and_b32_e32 v1, 0xfffff, v5
	v_add_nc_u32_e32 v5, v1, v64
                                        ; implicit-def: $vgpr1
	s_delay_alu instid0(VALU_DEP_3)
	v_cmpx_ne_u32_e64 v6, v7
	s_wait_alu 0xfffe
	s_xor_b32 s0, exec_lo, s0
; %bb.339:
	s_delay_alu instid0(VALU_DEP_2) | instskip(SKIP_3) | instid1(VALU_DEP_2)
	v_cmp_lt_u32_e32 vcc_lo, 0xffffff, v5
	v_sub_nc_u32_e32 v1, v6, v7
	s_wait_alu 0xfffd
	v_cndmask_b32_e64 v6, 0, 1, vcc_lo
	v_add_co_ci_u32_e64 v1, null, 0, v1, vcc_lo
	s_delay_alu instid0(VALU_DEP_2)
	v_lshrrev_b32_e32 v5, v6, v5
; %bb.340:
	s_wait_alu 0xfffe
	s_and_not1_saveexec_b32 s0, s0
; %bb.341:
	s_delay_alu instid0(VALU_DEP_1)
	v_bfe_u32 v1, v5, 23, 1
; %bb.342:
	s_wait_alu 0xfffe
	s_or_b32 exec_lo, exec_lo, s0
	v_lshrrev_b32_e32 v5, 20, v5
	s_delay_alu instid0(VALU_DEP_2) | instskip(SKIP_3) | instid1(VALU_DEP_3)
	v_min_i32_e32 v6, 15, v1
	v_cmp_gt_i32_e32 vcc_lo, 16, v1
	v_lshrrev_b32_e32 v2, 24, v2
	s_wait_alu 0xfffd
	v_dual_cndmask_b32 v5, 7, v5 :: v_dual_lshlrev_b32 v6, 3, v6
	s_delay_alu instid0(VALU_DEP_2) | instskip(NEXT) | instid1(VALU_DEP_2)
	v_and_b32_e32 v2, 0x80, v2
	v_and_b32_e32 v6, 0xf8, v6
	s_delay_alu instid0(VALU_DEP_3) | instskip(SKIP_1) | instid1(VALU_DEP_2)
	v_and_b32_e32 v7, 7, v5
	v_or_b32_e32 v1, v1, v5
	v_or3_b32 v2, v2, v6, v7
	s_delay_alu instid0(VALU_DEP_2) | instskip(NEXT) | instid1(VALU_DEP_2)
	v_cmp_ne_u32_e32 vcc_lo, 0, v1
	v_lshlrev_b32_e32 v2, 16, v2
	s_wait_alu 0xfffd
	s_delay_alu instid0(VALU_DEP_1)
	v_cndmask_b32_e32 v69, 0, v2, vcc_lo
.LBB4_343:
	s_wait_alu 0xfffe
	s_or_b32 exec_lo, exec_lo, s6
.LBB4_344:
	s_wait_alu 0xfffe
	s_or_b32 exec_lo, exec_lo, s3
	v_and_b32_e32 v1, 0x7f800000, v3
	v_bfrev_b32_e32 v70, 1
	s_mov_b32 s3, exec_lo
	s_delay_alu instid0(VALU_DEP_2)
	v_cmpx_ne_u32_e32 0x7f800000, v1
	s_cbranch_execz .LBB4_352
; %bb.345:
	v_mov_b32_e32 v70, 0
	s_mov_b32 s6, exec_lo
	v_cmpx_ne_u32_e32 0, v3
	s_cbranch_execz .LBB4_351
; %bb.346:
	v_bfe_u32 v1, v3, 23, 8
	s_delay_alu instid0(VALU_DEP_1) | instskip(SKIP_2) | instid1(VALU_DEP_2)
	v_sub_nc_u32_e32 v5, 0x78, v1
	v_cmp_gt_u32_e32 vcc_lo, 0x79, v1
	s_wait_alu 0xfffd
	v_dual_cndmask_b32 v5, 0, v5 :: v_dual_and_b32 v2, 0x7fffff, v3
	s_delay_alu instid0(VALU_DEP_1) | instskip(SKIP_2) | instid1(VALU_DEP_2)
	v_or_b32_e32 v6, 0x800000, v2
	v_cmp_eq_u32_e32 vcc_lo, 0, v1
	s_wait_alu 0xfffd
	v_dual_cndmask_b32 v2, v6, v2 :: v_dual_add_nc_u32 v1, 0xffffff89, v1
	v_cndmask_b32_e64 v5, v5, 0x77, vcc_lo
	s_delay_alu instid0(VALU_DEP_2) | instskip(NEXT) | instid1(VALU_DEP_2)
	v_cndmask_b32_e64 v1, v1, 0xffffff8a, vcc_lo
	v_lshrrev_b32_e32 v7, v5, v2
	v_lshl_add_u32 v6, 0x100000, v5, -1
	v_lshlrev_b32_e64 v65, v5, 0x80000
	s_delay_alu instid0(VALU_DEP_4) | instskip(NEXT) | instid1(VALU_DEP_4)
	v_add_nc_u32_e32 v5, v5, v1
	v_bfe_u32 v64, v7, 20, 1
	s_delay_alu instid0(VALU_DEP_4) | instskip(NEXT) | instid1(VALU_DEP_2)
	v_and_b32_e32 v2, v6, v2
	v_add_nc_u32_e32 v6, -1, v64
	s_delay_alu instid0(VALU_DEP_2) | instskip(SKIP_1) | instid1(VALU_DEP_1)
	v_cmp_eq_u32_e64 s0, v2, v65
	s_wait_alu 0xf1ff
	v_cndmask_b32_e64 v2, 0, v6, s0
	v_lshrrev_b32_e32 v6, 23, v7
	s_mov_b32 s0, exec_lo
	s_delay_alu instid0(VALU_DEP_2) | instskip(NEXT) | instid1(VALU_DEP_2)
	v_add_nc_u32_e32 v2, v2, v7
	v_xor_b32_e32 v6, 1, v6
	s_delay_alu instid0(VALU_DEP_2) | instskip(NEXT) | instid1(VALU_DEP_1)
	v_and_b32_e32 v1, 0xfffff, v2
	v_add_nc_u32_e32 v2, v1, v7
                                        ; implicit-def: $vgpr1
	s_delay_alu instid0(VALU_DEP_3)
	v_cmpx_ne_u32_e64 v5, v6
	s_wait_alu 0xfffe
	s_xor_b32 s0, exec_lo, s0
; %bb.347:
	s_delay_alu instid0(VALU_DEP_2) | instskip(SKIP_3) | instid1(VALU_DEP_2)
	v_cmp_lt_u32_e32 vcc_lo, 0xffffff, v2
	v_sub_nc_u32_e32 v1, v5, v6
	s_wait_alu 0xfffd
	v_cndmask_b32_e64 v5, 0, 1, vcc_lo
	v_add_co_ci_u32_e64 v1, null, 0, v1, vcc_lo
	s_delay_alu instid0(VALU_DEP_2)
	v_lshrrev_b32_e32 v2, v5, v2
; %bb.348:
	s_wait_alu 0xfffe
	s_and_not1_saveexec_b32 s0, s0
; %bb.349:
	s_delay_alu instid0(VALU_DEP_1)
	v_bfe_u32 v1, v2, 23, 1
; %bb.350:
	s_wait_alu 0xfffe
	s_or_b32 exec_lo, exec_lo, s0
	v_lshrrev_b32_e32 v2, 20, v2
	s_delay_alu instid0(VALU_DEP_2) | instskip(SKIP_3) | instid1(VALU_DEP_2)
	v_cmp_gt_i32_e32 vcc_lo, 16, v1
	v_lshrrev_b32_e32 v3, 24, v3
	v_min_i32_e32 v5, 15, v1
	s_wait_alu 0xfffd
	v_dual_cndmask_b32 v2, 7, v2 :: v_dual_and_b32 v3, 0x80, v3
	s_delay_alu instid0(VALU_DEP_1) | instskip(SKIP_1) | instid1(VALU_DEP_2)
	v_or_b32_e32 v1, v1, v2
	v_and_b32_e32 v6, 7, v2
	v_cmp_ne_u32_e32 vcc_lo, 0, v1
	v_lshlrev_b32_e32 v5, 3, v5
	s_delay_alu instid0(VALU_DEP_1) | instskip(NEXT) | instid1(VALU_DEP_1)
	v_or3_b32 v3, v3, v5, v6
	v_lshlrev_b32_e32 v2, 24, v3
	s_wait_alu 0xfffd
	s_delay_alu instid0(VALU_DEP_1)
	v_cndmask_b32_e32 v70, 0, v2, vcc_lo
.LBB4_351:
	s_wait_alu 0xfffe
	s_or_b32 exec_lo, exec_lo, s6
.LBB4_352:
	s_wait_alu 0xfffe
	s_or_b32 exec_lo, exec_lo, s3
	ds_load_b128 v[64:67], v92 offset:16
	v_or_b32_e32 v71, v0, v4
	v_wmma_f32_16x16x16_fp8_fp8 v[0:7], v[60:61], v[28:29], 0
	s_mov_b32 s6, s1
	s_mov_b32 s3, exec_lo
	s_delay_alu instid0(VALU_DEP_2) | instskip(SKIP_4) | instid1(VALU_DEP_1)
	v_or3_b32 v70, v69, v71, v70
	v_mov_b32_e32 v69, 0x80
	buffer_store_b32 v70, v68, s[4:7], null offen offset:64
	s_wait_dscnt 0x0
	v_and_b32_e32 v72, 0x7f800000, v64
	v_cmpx_ne_u32_e32 0x7f800000, v72
	s_cbranch_execz .LBB4_360
; %bb.353:
	v_mov_b32_e32 v69, 0
	s_mov_b32 s6, exec_lo
	v_cmpx_ne_u32_e32 0, v64
	s_cbranch_execz .LBB4_359
; %bb.354:
	v_bfe_u32 v69, v64, 23, 8
	s_delay_alu instid0(VALU_DEP_1) | instskip(SKIP_2) | instid1(VALU_DEP_2)
	v_sub_nc_u32_e32 v71, 0x78, v69
	v_cmp_gt_u32_e32 vcc_lo, 0x79, v69
	s_wait_alu 0xfffd
	v_dual_cndmask_b32 v71, 0, v71 :: v_dual_and_b32 v70, 0x7fffff, v64
	s_delay_alu instid0(VALU_DEP_1) | instskip(SKIP_2) | instid1(VALU_DEP_2)
	v_or_b32_e32 v72, 0x800000, v70
	v_cmp_eq_u32_e32 vcc_lo, 0, v69
	s_wait_alu 0xfffd
	v_dual_cndmask_b32 v70, v72, v70 :: v_dual_add_nc_u32 v69, 0xffffff89, v69
	v_cndmask_b32_e64 v71, v71, 0x77, vcc_lo
	s_delay_alu instid0(VALU_DEP_2) | instskip(NEXT) | instid1(VALU_DEP_2)
	v_cndmask_b32_e64 v69, v69, 0xffffff8a, vcc_lo
	v_lshrrev_b32_e32 v73, v71, v70
	v_lshl_add_u32 v72, 0x100000, v71, -1
	v_lshlrev_b32_e64 v75, v71, 0x80000
	s_delay_alu instid0(VALU_DEP_4) | instskip(NEXT) | instid1(VALU_DEP_4)
	v_add_nc_u32_e32 v71, v71, v69
	v_bfe_u32 v74, v73, 20, 1
	s_delay_alu instid0(VALU_DEP_4) | instskip(NEXT) | instid1(VALU_DEP_2)
	v_and_b32_e32 v70, v72, v70
	v_add_nc_u32_e32 v72, -1, v74
	s_delay_alu instid0(VALU_DEP_2) | instskip(SKIP_1) | instid1(VALU_DEP_1)
	v_cmp_eq_u32_e64 s0, v70, v75
	s_wait_alu 0xf1ff
	v_cndmask_b32_e64 v70, 0, v72, s0
	v_lshrrev_b32_e32 v72, 23, v73
	s_mov_b32 s0, exec_lo
	s_delay_alu instid0(VALU_DEP_2) | instskip(NEXT) | instid1(VALU_DEP_2)
	v_add_nc_u32_e32 v70, v70, v73
	v_xor_b32_e32 v72, 1, v72
	s_delay_alu instid0(VALU_DEP_2) | instskip(NEXT) | instid1(VALU_DEP_1)
	v_and_b32_e32 v69, 0xfffff, v70
	v_add_nc_u32_e32 v70, v69, v73
                                        ; implicit-def: $vgpr69
	s_delay_alu instid0(VALU_DEP_3)
	v_cmpx_ne_u32_e64 v71, v72
	s_wait_alu 0xfffe
	s_xor_b32 s0, exec_lo, s0
; %bb.355:
	s_delay_alu instid0(VALU_DEP_2) | instskip(SKIP_3) | instid1(VALU_DEP_2)
	v_cmp_lt_u32_e32 vcc_lo, 0xffffff, v70
	v_sub_nc_u32_e32 v69, v71, v72
	s_wait_alu 0xfffd
	v_cndmask_b32_e64 v71, 0, 1, vcc_lo
	v_add_co_ci_u32_e64 v69, null, 0, v69, vcc_lo
	s_delay_alu instid0(VALU_DEP_2)
	v_lshrrev_b32_e32 v70, v71, v70
; %bb.356:
	s_wait_alu 0xfffe
	s_and_not1_saveexec_b32 s0, s0
; %bb.357:
	s_delay_alu instid0(VALU_DEP_1)
	v_bfe_u32 v69, v70, 23, 1
; %bb.358:
	s_wait_alu 0xfffe
	s_or_b32 exec_lo, exec_lo, s0
	v_lshrrev_b32_e32 v70, 20, v70
	s_delay_alu instid0(VALU_DEP_2) | instskip(SKIP_3) | instid1(VALU_DEP_2)
	v_cmp_gt_i32_e32 vcc_lo, 16, v69
	v_min_i32_e32 v71, 15, v69
	v_lshrrev_b32_e32 v64, 24, v64
	s_wait_alu 0xfffd
	v_dual_cndmask_b32 v70, 7, v70 :: v_dual_lshlrev_b32 v71, 3, v71
	s_delay_alu instid0(VALU_DEP_2) | instskip(NEXT) | instid1(VALU_DEP_2)
	v_and_b32_e32 v64, 0x80, v64
	v_or_b32_e32 v69, v69, v70
	s_delay_alu instid0(VALU_DEP_3) | instskip(NEXT) | instid1(VALU_DEP_2)
	v_and_b32_e32 v71, 0xf8, v71
	v_cmp_ne_u32_e32 vcc_lo, 0, v69
	v_and_b32_e32 v72, 7, v70
	s_delay_alu instid0(VALU_DEP_1) | instskip(SKIP_1) | instid1(VALU_DEP_1)
	v_or3_b32 v64, v71, v64, v72
	s_wait_alu 0xfffd
	v_cndmask_b32_e32 v69, 0, v64, vcc_lo
.LBB4_359:
	s_wait_alu 0xfffe
	s_or_b32 exec_lo, exec_lo, s6
.LBB4_360:
	s_delay_alu instid0(SALU_CYCLE_1) | instskip(SKIP_2) | instid1(VALU_DEP_2)
	s_or_b32 exec_lo, exec_lo, s3
	v_and_b32_e32 v64, 0x7f800000, v65
	v_wmma_f32_16x16x16_fp8_fp8 v[0:7], v[62:63], v[30:31], v[0:7]
	v_cmp_ne_u32_e32 vcc_lo, 0x7f800000, v64
	v_mov_b32_e32 v64, 0x8000
	s_and_saveexec_b32 s3, vcc_lo
	s_cbranch_execz .LBB4_368
; %bb.361:
	v_mov_b32_e32 v64, 0
	s_mov_b32 s6, exec_lo
	v_cmpx_ne_u32_e32 0, v65
	s_cbranch_execz .LBB4_367
; %bb.362:
	v_bfe_u32 v64, v65, 23, 8
	s_delay_alu instid0(VALU_DEP_1) | instskip(SKIP_2) | instid1(VALU_DEP_2)
	v_sub_nc_u32_e32 v71, 0x78, v64
	v_cmp_gt_u32_e32 vcc_lo, 0x79, v64
	s_wait_alu 0xfffd
	v_dual_cndmask_b32 v71, 0, v71 :: v_dual_and_b32 v70, 0x7fffff, v65
	s_delay_alu instid0(VALU_DEP_1) | instskip(SKIP_4) | instid1(VALU_DEP_2)
	v_or_b32_e32 v72, 0x800000, v70
	v_cmp_eq_u32_e32 vcc_lo, 0, v64
	v_add_nc_u32_e32 v64, 0xffffff89, v64
	s_wait_alu 0xfffd
	v_cndmask_b32_e64 v71, v71, 0x77, vcc_lo
	v_cndmask_b32_e64 v64, v64, 0xffffff8a, vcc_lo
	v_cndmask_b32_e32 v70, v72, v70, vcc_lo
	s_delay_alu instid0(VALU_DEP_3) | instskip(SKIP_1) | instid1(VALU_DEP_3)
	v_lshl_add_u32 v72, 0x100000, v71, -1
	v_lshlrev_b32_e64 v75, v71, 0x80000
	v_lshrrev_b32_e32 v73, v71, v70
	v_add_nc_u32_e32 v71, v71, v64
	s_delay_alu instid0(VALU_DEP_4) | instskip(NEXT) | instid1(VALU_DEP_3)
	v_and_b32_e32 v70, v72, v70
	v_bfe_u32 v74, v73, 20, 1
	s_delay_alu instid0(VALU_DEP_2) | instskip(NEXT) | instid1(VALU_DEP_2)
	v_cmp_eq_u32_e64 s0, v70, v75
	v_add_nc_u32_e32 v72, -1, v74
	s_wait_alu 0xf1ff
	s_delay_alu instid0(VALU_DEP_1) | instskip(SKIP_2) | instid1(VALU_DEP_2)
	v_cndmask_b32_e64 v70, 0, v72, s0
	v_lshrrev_b32_e32 v72, 23, v73
	s_mov_b32 s0, exec_lo
	v_add_nc_u32_e32 v70, v70, v73
	s_delay_alu instid0(VALU_DEP_2) | instskip(NEXT) | instid1(VALU_DEP_2)
	v_xor_b32_e32 v72, 1, v72
	v_and_b32_e32 v64, 0xfffff, v70
	s_delay_alu instid0(VALU_DEP_1) | instskip(NEXT) | instid1(VALU_DEP_3)
	v_add_nc_u32_e32 v70, v64, v73
                                        ; implicit-def: $vgpr64
	v_cmpx_ne_u32_e64 v71, v72
	s_wait_alu 0xfffe
	s_xor_b32 s0, exec_lo, s0
; %bb.363:
	s_delay_alu instid0(VALU_DEP_2) | instskip(SKIP_3) | instid1(VALU_DEP_2)
	v_cmp_lt_u32_e32 vcc_lo, 0xffffff, v70
	v_sub_nc_u32_e32 v64, v71, v72
	s_wait_alu 0xfffd
	v_cndmask_b32_e64 v71, 0, 1, vcc_lo
	v_add_co_ci_u32_e64 v64, null, 0, v64, vcc_lo
	s_delay_alu instid0(VALU_DEP_2)
	v_lshrrev_b32_e32 v70, v71, v70
; %bb.364:
	s_wait_alu 0xfffe
	s_and_not1_saveexec_b32 s0, s0
; %bb.365:
	s_delay_alu instid0(VALU_DEP_1)
	v_bfe_u32 v64, v70, 23, 1
; %bb.366:
	s_wait_alu 0xfffe
	s_or_b32 exec_lo, exec_lo, s0
	v_lshrrev_b32_e32 v70, 20, v70
	s_delay_alu instid0(VALU_DEP_2) | instskip(SKIP_3) | instid1(VALU_DEP_2)
	v_cmp_gt_i32_e32 vcc_lo, 16, v64
	v_min_i32_e32 v71, 15, v64
	v_lshrrev_b32_e32 v65, 24, v65
	s_wait_alu 0xfffd
	v_dual_cndmask_b32 v70, 7, v70 :: v_dual_lshlrev_b32 v71, 3, v71
	s_delay_alu instid0(VALU_DEP_2) | instskip(NEXT) | instid1(VALU_DEP_2)
	v_and_b32_e32 v65, 0x80, v65
	v_or_b32_e32 v64, v64, v70
	v_and_b32_e32 v72, 7, v70
	s_delay_alu instid0(VALU_DEP_2) | instskip(SKIP_1) | instid1(VALU_DEP_1)
	v_cmp_ne_u32_e32 vcc_lo, 0, v64
	v_and_b32_e32 v71, 0xf8, v71
	v_or3_b32 v65, v65, v71, v72
	s_delay_alu instid0(VALU_DEP_1) | instskip(SKIP_1) | instid1(VALU_DEP_1)
	v_lshlrev_b32_e32 v65, 8, v65
	s_wait_alu 0xfffd
	v_cndmask_b32_e32 v64, 0, v65, vcc_lo
.LBB4_367:
	s_wait_alu 0xfffe
	s_or_b32 exec_lo, exec_lo, s6
.LBB4_368:
	s_wait_alu 0xfffe
	s_or_b32 exec_lo, exec_lo, s3
	v_and_b32_e32 v65, 0x7f800000, v66
	v_wmma_f32_16x16x16_fp8_fp8 v[0:7], v[56:57], v[24:25], v[0:7]
	s_delay_alu instid0(VALU_DEP_2)
	v_cmp_ne_u32_e32 vcc_lo, 0x7f800000, v65
	v_mov_b32_e32 v65, 0x800000
	s_and_saveexec_b32 s3, vcc_lo
	s_cbranch_execz .LBB4_376
; %bb.369:
	v_mov_b32_e32 v65, 0
	s_mov_b32 s6, exec_lo
	v_cmpx_ne_u32_e32 0, v66
	s_cbranch_execz .LBB4_375
; %bb.370:
	v_bfe_u32 v65, v66, 23, 8
	s_delay_alu instid0(VALU_DEP_1) | instskip(SKIP_2) | instid1(VALU_DEP_2)
	v_sub_nc_u32_e32 v71, 0x78, v65
	v_cmp_gt_u32_e32 vcc_lo, 0x79, v65
	s_wait_alu 0xfffd
	v_dual_cndmask_b32 v71, 0, v71 :: v_dual_and_b32 v70, 0x7fffff, v66
	s_delay_alu instid0(VALU_DEP_1) | instskip(SKIP_2) | instid1(VALU_DEP_2)
	v_or_b32_e32 v72, 0x800000, v70
	v_cmp_eq_u32_e32 vcc_lo, 0, v65
	s_wait_alu 0xfffd
	v_dual_cndmask_b32 v70, v72, v70 :: v_dual_add_nc_u32 v65, 0xffffff89, v65
	v_cndmask_b32_e64 v71, v71, 0x77, vcc_lo
	s_delay_alu instid0(VALU_DEP_2) | instskip(NEXT) | instid1(VALU_DEP_2)
	v_cndmask_b32_e64 v65, v65, 0xffffff8a, vcc_lo
	v_lshrrev_b32_e32 v73, v71, v70
	v_lshl_add_u32 v72, 0x100000, v71, -1
	v_lshlrev_b32_e64 v75, v71, 0x80000
	s_delay_alu instid0(VALU_DEP_4) | instskip(NEXT) | instid1(VALU_DEP_4)
	v_add_nc_u32_e32 v71, v71, v65
	v_bfe_u32 v74, v73, 20, 1
	s_delay_alu instid0(VALU_DEP_4) | instskip(NEXT) | instid1(VALU_DEP_2)
	v_and_b32_e32 v70, v72, v70
	v_add_nc_u32_e32 v72, -1, v74
	s_delay_alu instid0(VALU_DEP_2) | instskip(SKIP_1) | instid1(VALU_DEP_1)
	v_cmp_eq_u32_e64 s0, v70, v75
	s_wait_alu 0xf1ff
	v_cndmask_b32_e64 v70, 0, v72, s0
	v_lshrrev_b32_e32 v72, 23, v73
	s_mov_b32 s0, exec_lo
	s_delay_alu instid0(VALU_DEP_2) | instskip(NEXT) | instid1(VALU_DEP_2)
	v_add_nc_u32_e32 v70, v70, v73
	v_xor_b32_e32 v72, 1, v72
	s_delay_alu instid0(VALU_DEP_2) | instskip(NEXT) | instid1(VALU_DEP_1)
	v_and_b32_e32 v65, 0xfffff, v70
	v_add_nc_u32_e32 v70, v65, v73
                                        ; implicit-def: $vgpr65
	s_delay_alu instid0(VALU_DEP_3)
	v_cmpx_ne_u32_e64 v71, v72
	s_wait_alu 0xfffe
	s_xor_b32 s0, exec_lo, s0
; %bb.371:
	s_delay_alu instid0(VALU_DEP_2) | instskip(SKIP_3) | instid1(VALU_DEP_2)
	v_cmp_lt_u32_e32 vcc_lo, 0xffffff, v70
	v_sub_nc_u32_e32 v65, v71, v72
	s_wait_alu 0xfffd
	v_cndmask_b32_e64 v71, 0, 1, vcc_lo
	v_add_co_ci_u32_e64 v65, null, 0, v65, vcc_lo
	s_delay_alu instid0(VALU_DEP_2)
	v_lshrrev_b32_e32 v70, v71, v70
; %bb.372:
	s_wait_alu 0xfffe
	s_and_not1_saveexec_b32 s0, s0
; %bb.373:
	s_delay_alu instid0(VALU_DEP_1)
	v_bfe_u32 v65, v70, 23, 1
; %bb.374:
	s_wait_alu 0xfffe
	s_or_b32 exec_lo, exec_lo, s0
	v_lshrrev_b32_e32 v70, 20, v70
	s_delay_alu instid0(VALU_DEP_2) | instskip(SKIP_3) | instid1(VALU_DEP_3)
	v_min_i32_e32 v71, 15, v65
	v_cmp_gt_i32_e32 vcc_lo, 16, v65
	v_lshrrev_b32_e32 v66, 24, v66
	s_wait_alu 0xfffd
	v_dual_cndmask_b32 v70, 7, v70 :: v_dual_lshlrev_b32 v71, 3, v71
	s_delay_alu instid0(VALU_DEP_2) | instskip(NEXT) | instid1(VALU_DEP_2)
	v_and_b32_e32 v66, 0x80, v66
	v_and_b32_e32 v71, 0xf8, v71
	s_delay_alu instid0(VALU_DEP_3) | instskip(SKIP_1) | instid1(VALU_DEP_2)
	v_and_b32_e32 v72, 7, v70
	v_or_b32_e32 v65, v65, v70
	v_or3_b32 v66, v66, v71, v72
	s_delay_alu instid0(VALU_DEP_2) | instskip(NEXT) | instid1(VALU_DEP_2)
	v_cmp_ne_u32_e32 vcc_lo, 0, v65
	v_lshlrev_b32_e32 v66, 16, v66
	s_wait_alu 0xfffd
	s_delay_alu instid0(VALU_DEP_1)
	v_cndmask_b32_e32 v65, 0, v66, vcc_lo
.LBB4_375:
	s_wait_alu 0xfffe
	s_or_b32 exec_lo, exec_lo, s6
.LBB4_376:
	s_wait_alu 0xfffe
	s_or_b32 exec_lo, exec_lo, s3
	v_and_b32_e32 v66, 0x7f800000, v67
	v_wmma_f32_16x16x16_fp8_fp8 v[0:7], v[58:59], v[26:27], v[0:7]
	s_delay_alu instid0(VALU_DEP_2)
	v_cmp_ne_u32_e32 vcc_lo, 0x7f800000, v66
	v_bfrev_b32_e32 v66, 1
	s_and_saveexec_b32 s3, vcc_lo
	s_cbranch_execz .LBB4_384
; %bb.377:
	v_mov_b32_e32 v66, 0
	s_mov_b32 s6, exec_lo
	v_cmpx_ne_u32_e32 0, v67
	s_cbranch_execz .LBB4_383
; %bb.378:
	v_bfe_u32 v66, v67, 23, 8
	v_and_b32_e32 v70, 0x7fffff, v67
	s_delay_alu instid0(VALU_DEP_2) | instskip(SKIP_1) | instid1(VALU_DEP_3)
	v_sub_nc_u32_e32 v71, 0x78, v66
	v_cmp_gt_u32_e32 vcc_lo, 0x79, v66
	v_or_b32_e32 v72, 0x800000, v70
	s_wait_alu 0xfffd
	s_delay_alu instid0(VALU_DEP_3)
	v_cndmask_b32_e32 v71, 0, v71, vcc_lo
	v_cmp_eq_u32_e32 vcc_lo, 0, v66
	v_add_nc_u32_e32 v66, 0xffffff89, v66
	s_wait_alu 0xfffd
	v_cndmask_b32_e32 v70, v72, v70, vcc_lo
	v_cndmask_b32_e64 v71, v71, 0x77, vcc_lo
	s_delay_alu instid0(VALU_DEP_3) | instskip(NEXT) | instid1(VALU_DEP_2)
	v_cndmask_b32_e64 v66, v66, 0xffffff8a, vcc_lo
	v_lshrrev_b32_e32 v73, v71, v70
	v_lshl_add_u32 v72, 0x100000, v71, -1
	v_lshlrev_b32_e64 v75, v71, 0x80000
	s_delay_alu instid0(VALU_DEP_4) | instskip(NEXT) | instid1(VALU_DEP_4)
	v_add_nc_u32_e32 v71, v71, v66
	v_bfe_u32 v74, v73, 20, 1
	s_delay_alu instid0(VALU_DEP_4) | instskip(NEXT) | instid1(VALU_DEP_2)
	v_and_b32_e32 v70, v72, v70
	v_add_nc_u32_e32 v72, -1, v74
	s_delay_alu instid0(VALU_DEP_2) | instskip(SKIP_1) | instid1(VALU_DEP_1)
	v_cmp_eq_u32_e64 s0, v70, v75
	s_wait_alu 0xf1ff
	v_cndmask_b32_e64 v70, 0, v72, s0
	v_lshrrev_b32_e32 v72, 23, v73
	s_mov_b32 s0, exec_lo
	s_delay_alu instid0(VALU_DEP_2) | instskip(NEXT) | instid1(VALU_DEP_2)
	v_add_nc_u32_e32 v70, v70, v73
	v_xor_b32_e32 v72, 1, v72
	s_delay_alu instid0(VALU_DEP_2) | instskip(NEXT) | instid1(VALU_DEP_1)
	v_and_b32_e32 v66, 0xfffff, v70
	v_add_nc_u32_e32 v70, v66, v73
                                        ; implicit-def: $vgpr66
	s_delay_alu instid0(VALU_DEP_3)
	v_cmpx_ne_u32_e64 v71, v72
	s_wait_alu 0xfffe
	s_xor_b32 s0, exec_lo, s0
; %bb.379:
	s_delay_alu instid0(VALU_DEP_2) | instskip(SKIP_3) | instid1(VALU_DEP_2)
	v_cmp_lt_u32_e32 vcc_lo, 0xffffff, v70
	v_sub_nc_u32_e32 v66, v71, v72
	s_wait_alu 0xfffd
	v_cndmask_b32_e64 v71, 0, 1, vcc_lo
	v_add_co_ci_u32_e64 v66, null, 0, v66, vcc_lo
	s_delay_alu instid0(VALU_DEP_2)
	v_lshrrev_b32_e32 v70, v71, v70
; %bb.380:
	s_wait_alu 0xfffe
	s_and_not1_saveexec_b32 s0, s0
; %bb.381:
	s_delay_alu instid0(VALU_DEP_1)
	v_bfe_u32 v66, v70, 23, 1
; %bb.382:
	s_wait_alu 0xfffe
	s_or_b32 exec_lo, exec_lo, s0
	v_lshrrev_b32_e32 v70, 20, v70
	s_delay_alu instid0(VALU_DEP_2) | instskip(SKIP_3) | instid1(VALU_DEP_2)
	v_cmp_gt_i32_e32 vcc_lo, 16, v66
	v_lshrrev_b32_e32 v67, 24, v67
	v_min_i32_e32 v71, 15, v66
	s_wait_alu 0xfffd
	v_dual_cndmask_b32 v70, 7, v70 :: v_dual_and_b32 v67, 0x80, v67
	s_delay_alu instid0(VALU_DEP_2) | instskip(NEXT) | instid1(VALU_DEP_2)
	v_lshlrev_b32_e32 v71, 3, v71
	v_and_b32_e32 v72, 7, v70
	v_or_b32_e32 v66, v66, v70
	s_delay_alu instid0(VALU_DEP_2) | instskip(NEXT) | instid1(VALU_DEP_2)
	v_or3_b32 v67, v67, v71, v72
	v_cmp_ne_u32_e32 vcc_lo, 0, v66
	s_delay_alu instid0(VALU_DEP_2) | instskip(SKIP_1) | instid1(VALU_DEP_1)
	v_lshlrev_b32_e32 v67, 24, v67
	s_wait_alu 0xfffd
	v_cndmask_b32_e32 v66, 0, v67, vcc_lo
.LBB4_383:
	s_wait_alu 0xfffe
	s_or_b32 exec_lo, exec_lo, s6
.LBB4_384:
	s_wait_alu 0xfffe
	s_or_b32 exec_lo, exec_lo, s3
	v_or_b32_e32 v64, v64, v69
	s_mov_b32 s6, s1
	s_delay_alu instid0(VALU_DEP_1)
	v_or3_b32 v64, v65, v64, v66
	buffer_store_b32 v64, v68, s[4:7], null offen offset:68
	s_wait_dscnt 0x0
	s_barrier_signal -1
	s_barrier_wait -1
	ds_store_2addr_stride64_b32 v93, v0, v1 offset1:1
	ds_store_2addr_stride64_b32 v93, v2, v3 offset0:2 offset1:3
	ds_store_2addr_stride64_b32 v93, v4, v5 offset0:4 offset1:5
	;; [unrolled: 1-line block ×3, first 2 shown]
	s_wait_dscnt 0x0
	s_barrier_signal -1
	s_barrier_wait -1
	ds_load_b128 v[0:3], v92
	s_wait_dscnt 0x0
	v_and_b32_e32 v4, 0x7f800000, v0
	s_delay_alu instid0(VALU_DEP_1)
	v_cmp_ne_u32_e32 vcc_lo, 0x7f800000, v4
	v_mov_b32_e32 v4, 0x80
	s_and_saveexec_b32 s3, vcc_lo
	s_cbranch_execz .LBB4_392
; %bb.385:
	v_mov_b32_e32 v4, 0
	s_mov_b32 s6, exec_lo
	v_cmpx_ne_u32_e32 0, v0
	s_cbranch_execz .LBB4_391
; %bb.386:
	v_bfe_u32 v4, v0, 23, 8
	s_delay_alu instid0(VALU_DEP_1) | instskip(SKIP_2) | instid1(VALU_DEP_2)
	v_sub_nc_u32_e32 v6, 0x78, v4
	v_cmp_gt_u32_e32 vcc_lo, 0x79, v4
	s_wait_alu 0xfffd
	v_dual_cndmask_b32 v6, 0, v6 :: v_dual_and_b32 v5, 0x7fffff, v0
	s_delay_alu instid0(VALU_DEP_1) | instskip(SKIP_2) | instid1(VALU_DEP_2)
	v_or_b32_e32 v7, 0x800000, v5
	v_cmp_eq_u32_e32 vcc_lo, 0, v4
	s_wait_alu 0xfffd
	v_dual_cndmask_b32 v5, v7, v5 :: v_dual_add_nc_u32 v4, 0xffffff89, v4
	v_cndmask_b32_e64 v6, v6, 0x77, vcc_lo
	s_delay_alu instid0(VALU_DEP_2) | instskip(NEXT) | instid1(VALU_DEP_2)
	v_cndmask_b32_e64 v4, v4, 0xffffff8a, vcc_lo
	v_lshrrev_b32_e32 v64, v6, v5
	v_lshl_add_u32 v7, 0x100000, v6, -1
	v_lshlrev_b32_e64 v66, v6, 0x80000
	s_delay_alu instid0(VALU_DEP_4) | instskip(NEXT) | instid1(VALU_DEP_4)
	v_add_nc_u32_e32 v6, v6, v4
	v_bfe_u32 v65, v64, 20, 1
	s_delay_alu instid0(VALU_DEP_4) | instskip(NEXT) | instid1(VALU_DEP_2)
	v_and_b32_e32 v5, v7, v5
	v_add_nc_u32_e32 v7, -1, v65
	s_delay_alu instid0(VALU_DEP_2) | instskip(SKIP_1) | instid1(VALU_DEP_1)
	v_cmp_eq_u32_e64 s0, v5, v66
	s_wait_alu 0xf1ff
	v_cndmask_b32_e64 v5, 0, v7, s0
	v_lshrrev_b32_e32 v7, 23, v64
	s_mov_b32 s0, exec_lo
	s_delay_alu instid0(VALU_DEP_2) | instskip(NEXT) | instid1(VALU_DEP_2)
	v_add_nc_u32_e32 v5, v5, v64
	v_xor_b32_e32 v7, 1, v7
	s_delay_alu instid0(VALU_DEP_2) | instskip(NEXT) | instid1(VALU_DEP_1)
	v_and_b32_e32 v4, 0xfffff, v5
	v_add_nc_u32_e32 v5, v4, v64
                                        ; implicit-def: $vgpr4
	s_delay_alu instid0(VALU_DEP_3)
	v_cmpx_ne_u32_e64 v6, v7
	s_wait_alu 0xfffe
	s_xor_b32 s0, exec_lo, s0
; %bb.387:
	s_delay_alu instid0(VALU_DEP_2) | instskip(SKIP_3) | instid1(VALU_DEP_2)
	v_cmp_lt_u32_e32 vcc_lo, 0xffffff, v5
	v_sub_nc_u32_e32 v4, v6, v7
	s_wait_alu 0xfffd
	v_cndmask_b32_e64 v6, 0, 1, vcc_lo
	v_add_co_ci_u32_e64 v4, null, 0, v4, vcc_lo
	s_delay_alu instid0(VALU_DEP_2)
	v_lshrrev_b32_e32 v5, v6, v5
; %bb.388:
	s_wait_alu 0xfffe
	s_and_not1_saveexec_b32 s0, s0
; %bb.389:
	s_delay_alu instid0(VALU_DEP_1)
	v_bfe_u32 v4, v5, 23, 1
; %bb.390:
	s_wait_alu 0xfffe
	s_or_b32 exec_lo, exec_lo, s0
	v_lshrrev_b32_e32 v5, 20, v5
	s_delay_alu instid0(VALU_DEP_2) | instskip(SKIP_3) | instid1(VALU_DEP_2)
	v_cmp_gt_i32_e32 vcc_lo, 16, v4
	v_min_i32_e32 v6, 15, v4
	v_lshrrev_b32_e32 v0, 24, v0
	s_wait_alu 0xfffd
	v_dual_cndmask_b32 v5, 7, v5 :: v_dual_lshlrev_b32 v6, 3, v6
	s_delay_alu instid0(VALU_DEP_2) | instskip(NEXT) | instid1(VALU_DEP_2)
	v_and_b32_e32 v0, 0x80, v0
	v_or_b32_e32 v4, v4, v5
	s_delay_alu instid0(VALU_DEP_3) | instskip(NEXT) | instid1(VALU_DEP_2)
	v_and_b32_e32 v6, 0xf8, v6
	v_cmp_ne_u32_e32 vcc_lo, 0, v4
	v_and_b32_e32 v7, 7, v5
	s_delay_alu instid0(VALU_DEP_1) | instskip(SKIP_1) | instid1(VALU_DEP_1)
	v_or3_b32 v0, v6, v0, v7
	s_wait_alu 0xfffd
	v_cndmask_b32_e32 v4, 0, v0, vcc_lo
.LBB4_391:
	s_wait_alu 0xfffe
	s_or_b32 exec_lo, exec_lo, s6
.LBB4_392:
	s_wait_alu 0xfffe
	s_or_b32 exec_lo, exec_lo, s3
	v_and_b32_e32 v0, 0x7f800000, v1
	s_delay_alu instid0(VALU_DEP_1)
	v_cmp_ne_u32_e32 vcc_lo, 0x7f800000, v0
	v_mov_b32_e32 v0, 0x8000
	s_and_saveexec_b32 s3, vcc_lo
	s_cbranch_execz .LBB4_400
; %bb.393:
	v_mov_b32_e32 v0, 0
	s_mov_b32 s6, exec_lo
	v_cmpx_ne_u32_e32 0, v1
	s_cbranch_execz .LBB4_399
; %bb.394:
	v_bfe_u32 v0, v1, 23, 8
	s_delay_alu instid0(VALU_DEP_1) | instskip(SKIP_2) | instid1(VALU_DEP_2)
	v_sub_nc_u32_e32 v6, 0x78, v0
	v_cmp_gt_u32_e32 vcc_lo, 0x79, v0
	s_wait_alu 0xfffd
	v_dual_cndmask_b32 v6, 0, v6 :: v_dual_and_b32 v5, 0x7fffff, v1
	s_delay_alu instid0(VALU_DEP_1) | instskip(SKIP_2) | instid1(VALU_DEP_2)
	v_or_b32_e32 v7, 0x800000, v5
	v_cmp_eq_u32_e32 vcc_lo, 0, v0
	s_wait_alu 0xfffd
	v_dual_cndmask_b32 v5, v7, v5 :: v_dual_add_nc_u32 v0, 0xffffff89, v0
	v_cndmask_b32_e64 v6, v6, 0x77, vcc_lo
	s_delay_alu instid0(VALU_DEP_2) | instskip(NEXT) | instid1(VALU_DEP_2)
	v_cndmask_b32_e64 v0, v0, 0xffffff8a, vcc_lo
	v_lshrrev_b32_e32 v64, v6, v5
	v_lshl_add_u32 v7, 0x100000, v6, -1
	v_lshlrev_b32_e64 v66, v6, 0x80000
	s_delay_alu instid0(VALU_DEP_4) | instskip(NEXT) | instid1(VALU_DEP_4)
	v_add_nc_u32_e32 v6, v6, v0
	v_bfe_u32 v65, v64, 20, 1
	s_delay_alu instid0(VALU_DEP_4) | instskip(NEXT) | instid1(VALU_DEP_2)
	v_and_b32_e32 v5, v7, v5
	v_add_nc_u32_e32 v7, -1, v65
	s_delay_alu instid0(VALU_DEP_2) | instskip(SKIP_1) | instid1(VALU_DEP_1)
	v_cmp_eq_u32_e64 s0, v5, v66
	s_wait_alu 0xf1ff
	v_cndmask_b32_e64 v5, 0, v7, s0
	v_lshrrev_b32_e32 v7, 23, v64
	s_mov_b32 s0, exec_lo
	s_delay_alu instid0(VALU_DEP_2) | instskip(NEXT) | instid1(VALU_DEP_2)
	v_add_nc_u32_e32 v5, v5, v64
	v_xor_b32_e32 v7, 1, v7
	s_delay_alu instid0(VALU_DEP_2) | instskip(NEXT) | instid1(VALU_DEP_1)
	v_and_b32_e32 v0, 0xfffff, v5
	v_add_nc_u32_e32 v5, v0, v64
                                        ; implicit-def: $vgpr0
	s_delay_alu instid0(VALU_DEP_3)
	v_cmpx_ne_u32_e64 v6, v7
	s_wait_alu 0xfffe
	s_xor_b32 s0, exec_lo, s0
; %bb.395:
	s_delay_alu instid0(VALU_DEP_2) | instskip(SKIP_3) | instid1(VALU_DEP_2)
	v_cmp_lt_u32_e32 vcc_lo, 0xffffff, v5
	v_sub_nc_u32_e32 v0, v6, v7
	s_wait_alu 0xfffd
	v_cndmask_b32_e64 v6, 0, 1, vcc_lo
	v_add_co_ci_u32_e64 v0, null, 0, v0, vcc_lo
	s_delay_alu instid0(VALU_DEP_2)
	v_lshrrev_b32_e32 v5, v6, v5
; %bb.396:
	s_wait_alu 0xfffe
	s_and_not1_saveexec_b32 s0, s0
; %bb.397:
	s_delay_alu instid0(VALU_DEP_1)
	v_bfe_u32 v0, v5, 23, 1
; %bb.398:
	s_wait_alu 0xfffe
	s_or_b32 exec_lo, exec_lo, s0
	v_lshrrev_b32_e32 v5, 20, v5
	s_delay_alu instid0(VALU_DEP_2) | instskip(SKIP_3) | instid1(VALU_DEP_3)
	v_min_i32_e32 v6, 15, v0
	v_cmp_gt_i32_e32 vcc_lo, 16, v0
	v_lshrrev_b32_e32 v1, 24, v1
	s_wait_alu 0xfffd
	v_dual_cndmask_b32 v5, 7, v5 :: v_dual_lshlrev_b32 v6, 3, v6
	s_delay_alu instid0(VALU_DEP_2) | instskip(NEXT) | instid1(VALU_DEP_2)
	v_and_b32_e32 v1, 0x80, v1
	v_and_b32_e32 v6, 0xf8, v6
	s_delay_alu instid0(VALU_DEP_3) | instskip(SKIP_1) | instid1(VALU_DEP_2)
	v_and_b32_e32 v7, 7, v5
	v_or_b32_e32 v0, v0, v5
	v_or3_b32 v1, v1, v6, v7
	s_delay_alu instid0(VALU_DEP_2) | instskip(NEXT) | instid1(VALU_DEP_2)
	v_cmp_ne_u32_e32 vcc_lo, 0, v0
	v_lshlrev_b32_e32 v1, 8, v1
	s_wait_alu 0xfffd
	s_delay_alu instid0(VALU_DEP_1)
	v_cndmask_b32_e32 v0, 0, v1, vcc_lo
.LBB4_399:
	s_wait_alu 0xfffe
	s_or_b32 exec_lo, exec_lo, s6
.LBB4_400:
	s_wait_alu 0xfffe
	s_or_b32 exec_lo, exec_lo, s3
	v_and_b32_e32 v1, 0x7f800000, v2
	v_mov_b32_e32 v69, 0x800000
	s_mov_b32 s3, exec_lo
	s_delay_alu instid0(VALU_DEP_2)
	v_cmpx_ne_u32_e32 0x7f800000, v1
	s_cbranch_execz .LBB4_408
; %bb.401:
	v_mov_b32_e32 v69, 0
	s_mov_b32 s6, exec_lo
	v_cmpx_ne_u32_e32 0, v2
	s_cbranch_execz .LBB4_407
; %bb.402:
	v_bfe_u32 v1, v2, 23, 8
	v_and_b32_e32 v5, 0x7fffff, v2
	s_delay_alu instid0(VALU_DEP_2) | instskip(SKIP_1) | instid1(VALU_DEP_3)
	v_sub_nc_u32_e32 v6, 0x78, v1
	v_cmp_gt_u32_e32 vcc_lo, 0x79, v1
	v_or_b32_e32 v7, 0x800000, v5
	s_wait_alu 0xfffd
	s_delay_alu instid0(VALU_DEP_3)
	v_cndmask_b32_e32 v6, 0, v6, vcc_lo
	v_cmp_eq_u32_e32 vcc_lo, 0, v1
	v_add_nc_u32_e32 v1, 0xffffff89, v1
	s_wait_alu 0xfffd
	v_cndmask_b32_e32 v5, v7, v5, vcc_lo
	v_cndmask_b32_e64 v6, v6, 0x77, vcc_lo
	s_delay_alu instid0(VALU_DEP_3) | instskip(NEXT) | instid1(VALU_DEP_2)
	v_cndmask_b32_e64 v1, v1, 0xffffff8a, vcc_lo
	v_lshrrev_b32_e32 v64, v6, v5
	v_lshl_add_u32 v7, 0x100000, v6, -1
	v_lshlrev_b32_e64 v66, v6, 0x80000
	s_delay_alu instid0(VALU_DEP_4) | instskip(NEXT) | instid1(VALU_DEP_4)
	v_add_nc_u32_e32 v6, v6, v1
	v_bfe_u32 v65, v64, 20, 1
	s_delay_alu instid0(VALU_DEP_4) | instskip(NEXT) | instid1(VALU_DEP_2)
	v_and_b32_e32 v5, v7, v5
	v_add_nc_u32_e32 v7, -1, v65
	s_delay_alu instid0(VALU_DEP_2) | instskip(SKIP_1) | instid1(VALU_DEP_1)
	v_cmp_eq_u32_e64 s0, v5, v66
	s_wait_alu 0xf1ff
	v_cndmask_b32_e64 v5, 0, v7, s0
	v_lshrrev_b32_e32 v7, 23, v64
	s_mov_b32 s0, exec_lo
	s_delay_alu instid0(VALU_DEP_2) | instskip(NEXT) | instid1(VALU_DEP_2)
	v_add_nc_u32_e32 v5, v5, v64
	v_xor_b32_e32 v7, 1, v7
	s_delay_alu instid0(VALU_DEP_2) | instskip(NEXT) | instid1(VALU_DEP_1)
	v_and_b32_e32 v1, 0xfffff, v5
	v_add_nc_u32_e32 v5, v1, v64
                                        ; implicit-def: $vgpr1
	s_delay_alu instid0(VALU_DEP_3)
	v_cmpx_ne_u32_e64 v6, v7
	s_wait_alu 0xfffe
	s_xor_b32 s0, exec_lo, s0
; %bb.403:
	s_delay_alu instid0(VALU_DEP_2) | instskip(SKIP_3) | instid1(VALU_DEP_2)
	v_cmp_lt_u32_e32 vcc_lo, 0xffffff, v5
	v_sub_nc_u32_e32 v1, v6, v7
	s_wait_alu 0xfffd
	v_cndmask_b32_e64 v6, 0, 1, vcc_lo
	v_add_co_ci_u32_e64 v1, null, 0, v1, vcc_lo
	s_delay_alu instid0(VALU_DEP_2)
	v_lshrrev_b32_e32 v5, v6, v5
; %bb.404:
	s_wait_alu 0xfffe
	s_and_not1_saveexec_b32 s0, s0
; %bb.405:
	s_delay_alu instid0(VALU_DEP_1)
	v_bfe_u32 v1, v5, 23, 1
; %bb.406:
	s_wait_alu 0xfffe
	s_or_b32 exec_lo, exec_lo, s0
	v_lshrrev_b32_e32 v5, 20, v5
	s_delay_alu instid0(VALU_DEP_2) | instskip(SKIP_3) | instid1(VALU_DEP_3)
	v_min_i32_e32 v6, 15, v1
	v_cmp_gt_i32_e32 vcc_lo, 16, v1
	v_lshrrev_b32_e32 v2, 24, v2
	s_wait_alu 0xfffd
	v_dual_cndmask_b32 v5, 7, v5 :: v_dual_lshlrev_b32 v6, 3, v6
	s_delay_alu instid0(VALU_DEP_2) | instskip(NEXT) | instid1(VALU_DEP_2)
	v_and_b32_e32 v2, 0x80, v2
	v_and_b32_e32 v6, 0xf8, v6
	s_delay_alu instid0(VALU_DEP_3) | instskip(SKIP_1) | instid1(VALU_DEP_2)
	v_and_b32_e32 v7, 7, v5
	v_or_b32_e32 v1, v1, v5
	v_or3_b32 v2, v2, v6, v7
	s_delay_alu instid0(VALU_DEP_2) | instskip(NEXT) | instid1(VALU_DEP_2)
	v_cmp_ne_u32_e32 vcc_lo, 0, v1
	v_lshlrev_b32_e32 v2, 16, v2
	s_wait_alu 0xfffd
	s_delay_alu instid0(VALU_DEP_1)
	v_cndmask_b32_e32 v69, 0, v2, vcc_lo
.LBB4_407:
	s_wait_alu 0xfffe
	s_or_b32 exec_lo, exec_lo, s6
.LBB4_408:
	s_wait_alu 0xfffe
	s_or_b32 exec_lo, exec_lo, s3
	v_and_b32_e32 v1, 0x7f800000, v3
	v_add_nc_u32_e32 v70, 64, v68
	v_bfrev_b32_e32 v71, 1
	s_mov_b32 s3, exec_lo
	s_delay_alu instid0(VALU_DEP_3)
	v_cmpx_ne_u32_e32 0x7f800000, v1
	s_cbranch_execz .LBB4_416
; %bb.409:
	v_mov_b32_e32 v71, 0
	s_mov_b32 s6, exec_lo
	v_cmpx_ne_u32_e32 0, v3
	s_cbranch_execz .LBB4_415
; %bb.410:
	v_bfe_u32 v1, v3, 23, 8
	s_delay_alu instid0(VALU_DEP_1) | instskip(SKIP_2) | instid1(VALU_DEP_2)
	v_sub_nc_u32_e32 v5, 0x78, v1
	v_cmp_gt_u32_e32 vcc_lo, 0x79, v1
	s_wait_alu 0xfffd
	v_dual_cndmask_b32 v5, 0, v5 :: v_dual_and_b32 v2, 0x7fffff, v3
	s_delay_alu instid0(VALU_DEP_1) | instskip(SKIP_2) | instid1(VALU_DEP_2)
	v_or_b32_e32 v6, 0x800000, v2
	v_cmp_eq_u32_e32 vcc_lo, 0, v1
	s_wait_alu 0xfffd
	v_dual_cndmask_b32 v2, v6, v2 :: v_dual_add_nc_u32 v1, 0xffffff89, v1
	v_cndmask_b32_e64 v5, v5, 0x77, vcc_lo
	s_delay_alu instid0(VALU_DEP_2) | instskip(NEXT) | instid1(VALU_DEP_2)
	v_cndmask_b32_e64 v1, v1, 0xffffff8a, vcc_lo
	v_lshrrev_b32_e32 v7, v5, v2
	v_lshl_add_u32 v6, 0x100000, v5, -1
	v_lshlrev_b32_e64 v65, v5, 0x80000
	s_delay_alu instid0(VALU_DEP_4) | instskip(NEXT) | instid1(VALU_DEP_4)
	v_add_nc_u32_e32 v5, v5, v1
	v_bfe_u32 v64, v7, 20, 1
	s_delay_alu instid0(VALU_DEP_4) | instskip(NEXT) | instid1(VALU_DEP_2)
	v_and_b32_e32 v2, v6, v2
	v_add_nc_u32_e32 v6, -1, v64
	s_delay_alu instid0(VALU_DEP_2) | instskip(SKIP_1) | instid1(VALU_DEP_1)
	v_cmp_eq_u32_e64 s0, v2, v65
	s_wait_alu 0xf1ff
	v_cndmask_b32_e64 v2, 0, v6, s0
	v_lshrrev_b32_e32 v6, 23, v7
	s_mov_b32 s0, exec_lo
	s_delay_alu instid0(VALU_DEP_2) | instskip(NEXT) | instid1(VALU_DEP_2)
	v_add_nc_u32_e32 v2, v2, v7
	v_xor_b32_e32 v6, 1, v6
	s_delay_alu instid0(VALU_DEP_2) | instskip(NEXT) | instid1(VALU_DEP_1)
	v_and_b32_e32 v1, 0xfffff, v2
	v_add_nc_u32_e32 v2, v1, v7
                                        ; implicit-def: $vgpr1
	s_delay_alu instid0(VALU_DEP_3)
	v_cmpx_ne_u32_e64 v5, v6
	s_wait_alu 0xfffe
	s_xor_b32 s0, exec_lo, s0
; %bb.411:
	s_delay_alu instid0(VALU_DEP_2) | instskip(SKIP_3) | instid1(VALU_DEP_2)
	v_cmp_lt_u32_e32 vcc_lo, 0xffffff, v2
	v_sub_nc_u32_e32 v1, v5, v6
	s_wait_alu 0xfffd
	v_cndmask_b32_e64 v5, 0, 1, vcc_lo
	v_add_co_ci_u32_e64 v1, null, 0, v1, vcc_lo
	s_delay_alu instid0(VALU_DEP_2)
	v_lshrrev_b32_e32 v2, v5, v2
; %bb.412:
	s_wait_alu 0xfffe
	s_and_not1_saveexec_b32 s0, s0
; %bb.413:
	s_delay_alu instid0(VALU_DEP_1)
	v_bfe_u32 v1, v2, 23, 1
; %bb.414:
	s_wait_alu 0xfffe
	s_or_b32 exec_lo, exec_lo, s0
	v_lshrrev_b32_e32 v2, 20, v2
	s_delay_alu instid0(VALU_DEP_2) | instskip(SKIP_3) | instid1(VALU_DEP_2)
	v_cmp_gt_i32_e32 vcc_lo, 16, v1
	v_lshrrev_b32_e32 v3, 24, v3
	v_min_i32_e32 v5, 15, v1
	s_wait_alu 0xfffd
	v_dual_cndmask_b32 v2, 7, v2 :: v_dual_and_b32 v3, 0x80, v3
	s_delay_alu instid0(VALU_DEP_2) | instskip(NEXT) | instid1(VALU_DEP_2)
	v_lshlrev_b32_e32 v5, 3, v5
	v_and_b32_e32 v6, 7, v2
	v_or_b32_e32 v1, v1, v2
	s_delay_alu instid0(VALU_DEP_2) | instskip(NEXT) | instid1(VALU_DEP_2)
	v_or3_b32 v3, v3, v5, v6
	v_cmp_ne_u32_e32 vcc_lo, 0, v1
	s_delay_alu instid0(VALU_DEP_2) | instskip(SKIP_1) | instid1(VALU_DEP_1)
	v_lshlrev_b32_e32 v2, 24, v3
	s_wait_alu 0xfffd
	v_cndmask_b32_e32 v71, 0, v2, vcc_lo
.LBB4_415:
	s_wait_alu 0xfffe
	s_or_b32 exec_lo, exec_lo, s6
.LBB4_416:
	s_wait_alu 0xfffe
	s_or_b32 exec_lo, exec_lo, s3
	ds_load_b128 v[64:67], v92 offset:16
	v_or_b32_e32 v72, v0, v4
	v_wmma_f32_16x16x16_fp8_fp8 v[0:7], v[60:61], v[16:17], 0
	v_dual_mov_b32 v61, 0x80 :: v_dual_add_nc_u32 v60, s2, v70
	s_delay_alu instid0(VALU_DEP_3)
	v_or3_b32 v69, v69, v72, v71
	s_mov_b32 s6, s1
	s_mov_b32 s3, exec_lo
	buffer_store_b32 v69, v60, s[4:7], null offen
	s_wait_dscnt 0x0
	v_and_b32_e32 v73, 0x7f800000, v64
	s_delay_alu instid0(VALU_DEP_1)
	v_cmpx_ne_u32_e32 0x7f800000, v73
	s_cbranch_execz .LBB4_424
; %bb.417:
	v_mov_b32_e32 v61, 0
	s_mov_b32 s6, exec_lo
	v_cmpx_ne_u32_e32 0, v64
	s_cbranch_execz .LBB4_423
; %bb.418:
	v_bfe_u32 v61, v64, 23, 8
	s_delay_alu instid0(VALU_DEP_1) | instskip(SKIP_2) | instid1(VALU_DEP_2)
	v_sub_nc_u32_e32 v70, 0x78, v61
	v_cmp_gt_u32_e32 vcc_lo, 0x79, v61
	s_wait_alu 0xfffd
	v_dual_cndmask_b32 v70, 0, v70 :: v_dual_and_b32 v69, 0x7fffff, v64
	s_delay_alu instid0(VALU_DEP_1)
	v_or_b32_e32 v71, 0x800000, v69
	v_cmp_eq_u32_e32 vcc_lo, 0, v61
	v_add_nc_u32_e32 v61, 0xffffff89, v61
	s_wait_alu 0xfffd
	v_cndmask_b32_e64 v70, v70, 0x77, vcc_lo
	v_cndmask_b32_e32 v69, v71, v69, vcc_lo
	s_delay_alu instid0(VALU_DEP_3) | instskip(NEXT) | instid1(VALU_DEP_3)
	v_cndmask_b32_e64 v61, v61, 0xffffff8a, vcc_lo
	v_lshl_add_u32 v71, 0x100000, v70, -1
	s_delay_alu instid0(VALU_DEP_3) | instskip(SKIP_1) | instid1(VALU_DEP_4)
	v_lshrrev_b32_e32 v72, v70, v69
	v_lshlrev_b32_e64 v74, v70, 0x80000
	v_add_nc_u32_e32 v70, v70, v61
	s_delay_alu instid0(VALU_DEP_4) | instskip(NEXT) | instid1(VALU_DEP_4)
	v_and_b32_e32 v69, v71, v69
	v_bfe_u32 v73, v72, 20, 1
	s_delay_alu instid0(VALU_DEP_2) | instskip(NEXT) | instid1(VALU_DEP_2)
	v_cmp_eq_u32_e64 s0, v69, v74
	v_add_nc_u32_e32 v71, -1, v73
	s_wait_alu 0xf1ff
	s_delay_alu instid0(VALU_DEP_1) | instskip(SKIP_2) | instid1(VALU_DEP_2)
	v_cndmask_b32_e64 v69, 0, v71, s0
	v_lshrrev_b32_e32 v71, 23, v72
	s_mov_b32 s0, exec_lo
	v_add_nc_u32_e32 v69, v69, v72
	s_delay_alu instid0(VALU_DEP_2) | instskip(NEXT) | instid1(VALU_DEP_2)
	v_xor_b32_e32 v71, 1, v71
	v_and_b32_e32 v61, 0xfffff, v69
	s_delay_alu instid0(VALU_DEP_1) | instskip(NEXT) | instid1(VALU_DEP_3)
	v_add_nc_u32_e32 v69, v61, v72
                                        ; implicit-def: $vgpr61
	v_cmpx_ne_u32_e64 v70, v71
	s_wait_alu 0xfffe
	s_xor_b32 s0, exec_lo, s0
; %bb.419:
	s_delay_alu instid0(VALU_DEP_2) | instskip(SKIP_3) | instid1(VALU_DEP_2)
	v_cmp_lt_u32_e32 vcc_lo, 0xffffff, v69
	v_sub_nc_u32_e32 v61, v70, v71
	s_wait_alu 0xfffd
	v_cndmask_b32_e64 v70, 0, 1, vcc_lo
	v_add_co_ci_u32_e64 v61, null, 0, v61, vcc_lo
	s_delay_alu instid0(VALU_DEP_2)
	v_lshrrev_b32_e32 v69, v70, v69
; %bb.420:
	s_wait_alu 0xfffe
	s_and_not1_saveexec_b32 s0, s0
; %bb.421:
	s_delay_alu instid0(VALU_DEP_1)
	v_bfe_u32 v61, v69, 23, 1
; %bb.422:
	s_wait_alu 0xfffe
	s_or_b32 exec_lo, exec_lo, s0
	v_lshrrev_b32_e32 v69, 20, v69
	s_delay_alu instid0(VALU_DEP_2) | instskip(SKIP_3) | instid1(VALU_DEP_2)
	v_cmp_gt_i32_e32 vcc_lo, 16, v61
	v_min_i32_e32 v70, 15, v61
	v_lshrrev_b32_e32 v64, 24, v64
	s_wait_alu 0xfffd
	v_dual_cndmask_b32 v69, 7, v69 :: v_dual_lshlrev_b32 v70, 3, v70
	s_delay_alu instid0(VALU_DEP_2) | instskip(NEXT) | instid1(VALU_DEP_2)
	v_and_b32_e32 v64, 0x80, v64
	v_or_b32_e32 v61, v61, v69
	v_and_b32_e32 v71, 7, v69
	s_delay_alu instid0(VALU_DEP_2) | instskip(SKIP_1) | instid1(VALU_DEP_1)
	v_cmp_ne_u32_e32 vcc_lo, 0, v61
	v_and_b32_e32 v70, 0xf8, v70
	v_or3_b32 v64, v70, v64, v71
	s_wait_alu 0xfffd
	s_delay_alu instid0(VALU_DEP_1)
	v_cndmask_b32_e32 v61, 0, v64, vcc_lo
.LBB4_423:
	s_wait_alu 0xfffe
	s_or_b32 exec_lo, exec_lo, s6
.LBB4_424:
	s_delay_alu instid0(SALU_CYCLE_1) | instskip(SKIP_4) | instid1(VALU_DEP_3)
	s_or_b32 exec_lo, exec_lo, s3
	v_and_b32_e32 v64, 0x7f800000, v65
	v_wmma_f32_16x16x16_fp8_fp8 v[0:7], v[62:63], v[18:19], v[0:7]
	v_mov_b32_e32 v62, 0x8000
	s_mov_b32 s3, exec_lo
	v_cmpx_ne_u32_e32 0x7f800000, v64
	s_cbranch_execz .LBB4_432
; %bb.425:
	v_mov_b32_e32 v62, 0
	s_mov_b32 s6, exec_lo
	v_cmpx_ne_u32_e32 0, v65
	s_cbranch_execz .LBB4_431
; %bb.426:
	v_bfe_u32 v62, v65, 23, 8
	s_delay_alu instid0(VALU_DEP_1) | instskip(SKIP_2) | instid1(VALU_DEP_2)
	v_sub_nc_u32_e32 v64, 0x78, v62
	v_cmp_gt_u32_e32 vcc_lo, 0x79, v62
	s_wait_alu 0xfffd
	v_dual_cndmask_b32 v64, 0, v64 :: v_dual_and_b32 v63, 0x7fffff, v65
	s_delay_alu instid0(VALU_DEP_1) | instskip(SKIP_2) | instid1(VALU_DEP_2)
	v_or_b32_e32 v69, 0x800000, v63
	v_cmp_eq_u32_e32 vcc_lo, 0, v62
	s_wait_alu 0xfffd
	v_dual_cndmask_b32 v63, v69, v63 :: v_dual_add_nc_u32 v62, 0xffffff89, v62
	v_cndmask_b32_e64 v64, v64, 0x77, vcc_lo
	s_delay_alu instid0(VALU_DEP_2) | instskip(NEXT) | instid1(VALU_DEP_2)
	v_cndmask_b32_e64 v62, v62, 0xffffff8a, vcc_lo
	v_lshrrev_b32_e32 v70, v64, v63
	v_lshl_add_u32 v69, 0x100000, v64, -1
	v_lshlrev_b32_e64 v72, v64, 0x80000
	s_delay_alu instid0(VALU_DEP_4) | instskip(NEXT) | instid1(VALU_DEP_4)
	v_add_nc_u32_e32 v64, v64, v62
	v_bfe_u32 v71, v70, 20, 1
	s_delay_alu instid0(VALU_DEP_4) | instskip(NEXT) | instid1(VALU_DEP_2)
	v_and_b32_e32 v63, v69, v63
	v_add_nc_u32_e32 v69, -1, v71
	s_delay_alu instid0(VALU_DEP_2) | instskip(SKIP_1) | instid1(VALU_DEP_1)
	v_cmp_eq_u32_e64 s0, v63, v72
	s_wait_alu 0xf1ff
	v_cndmask_b32_e64 v63, 0, v69, s0
	v_lshrrev_b32_e32 v69, 23, v70
	s_mov_b32 s0, exec_lo
	s_delay_alu instid0(VALU_DEP_2) | instskip(NEXT) | instid1(VALU_DEP_2)
	v_add_nc_u32_e32 v63, v63, v70
	v_xor_b32_e32 v69, 1, v69
	s_delay_alu instid0(VALU_DEP_2) | instskip(NEXT) | instid1(VALU_DEP_1)
	v_and_b32_e32 v62, 0xfffff, v63
	v_add_nc_u32_e32 v63, v62, v70
                                        ; implicit-def: $vgpr62
	s_delay_alu instid0(VALU_DEP_3)
	v_cmpx_ne_u32_e64 v64, v69
	s_wait_alu 0xfffe
	s_xor_b32 s0, exec_lo, s0
; %bb.427:
	s_delay_alu instid0(VALU_DEP_2) | instskip(SKIP_3) | instid1(VALU_DEP_2)
	v_cmp_lt_u32_e32 vcc_lo, 0xffffff, v63
	v_sub_nc_u32_e32 v62, v64, v69
	s_wait_alu 0xfffd
	v_cndmask_b32_e64 v64, 0, 1, vcc_lo
	v_add_co_ci_u32_e64 v62, null, 0, v62, vcc_lo
	s_delay_alu instid0(VALU_DEP_2)
	v_lshrrev_b32_e32 v63, v64, v63
; %bb.428:
	s_wait_alu 0xfffe
	s_and_not1_saveexec_b32 s0, s0
; %bb.429:
	s_delay_alu instid0(VALU_DEP_1)
	v_bfe_u32 v62, v63, 23, 1
; %bb.430:
	s_wait_alu 0xfffe
	s_or_b32 exec_lo, exec_lo, s0
	v_lshrrev_b32_e32 v63, 20, v63
	s_delay_alu instid0(VALU_DEP_2) | instskip(SKIP_3) | instid1(VALU_DEP_2)
	v_cmp_gt_i32_e32 vcc_lo, 16, v62
	v_min_i32_e32 v64, 15, v62
	v_lshrrev_b32_e32 v65, 24, v65
	s_wait_alu 0xfffd
	v_dual_cndmask_b32 v63, 7, v63 :: v_dual_lshlrev_b32 v64, 3, v64
	s_delay_alu instid0(VALU_DEP_1) | instskip(SKIP_1) | instid1(VALU_DEP_3)
	v_or_b32_e32 v62, v62, v63
	v_and_b32_e32 v69, 7, v63
	v_and_b32_e32 v64, 0xf8, v64
	s_delay_alu instid0(VALU_DEP_3) | instskip(SKIP_1) | instid1(VALU_DEP_1)
	v_cmp_ne_u32_e32 vcc_lo, 0, v62
	v_and_b32_e32 v65, 0x80, v65
	v_or3_b32 v64, v65, v64, v69
	s_delay_alu instid0(VALU_DEP_1) | instskip(SKIP_1) | instid1(VALU_DEP_1)
	v_lshlrev_b32_e32 v63, 8, v64
	s_wait_alu 0xfffd
	v_cndmask_b32_e32 v62, 0, v63, vcc_lo
.LBB4_431:
	s_wait_alu 0xfffe
	s_or_b32 exec_lo, exec_lo, s6
.LBB4_432:
	s_wait_alu 0xfffe
	s_or_b32 exec_lo, exec_lo, s3
	v_and_b32_e32 v63, 0x7f800000, v66
	v_wmma_f32_16x16x16_fp8_fp8 v[0:7], v[56:57], v[8:9], v[0:7]
	v_mov_b32_e32 v56, 0x800000
	s_mov_b32 s3, exec_lo
	s_delay_alu instid0(VALU_DEP_3)
	v_cmpx_ne_u32_e32 0x7f800000, v63
	s_cbranch_execz .LBB4_440
; %bb.433:
	v_mov_b32_e32 v56, 0
	s_mov_b32 s6, exec_lo
	v_cmpx_ne_u32_e32 0, v66
	s_cbranch_execz .LBB4_439
; %bb.434:
	v_bfe_u32 v56, v66, 23, 8
	v_and_b32_e32 v57, 0x7fffff, v66
	s_delay_alu instid0(VALU_DEP_2) | instskip(SKIP_1) | instid1(VALU_DEP_3)
	v_sub_nc_u32_e32 v63, 0x78, v56
	v_cmp_gt_u32_e32 vcc_lo, 0x79, v56
	v_or_b32_e32 v64, 0x800000, v57
	s_wait_alu 0xfffd
	s_delay_alu instid0(VALU_DEP_3) | instskip(SKIP_3) | instid1(VALU_DEP_3)
	v_cndmask_b32_e32 v63, 0, v63, vcc_lo
	v_cmp_eq_u32_e32 vcc_lo, 0, v56
	s_wait_alu 0xfffd
	v_dual_cndmask_b32 v57, v64, v57 :: v_dual_add_nc_u32 v56, 0xffffff89, v56
	v_cndmask_b32_e64 v63, v63, 0x77, vcc_lo
	s_delay_alu instid0(VALU_DEP_2) | instskip(NEXT) | instid1(VALU_DEP_2)
	v_cndmask_b32_e64 v56, v56, 0xffffff8a, vcc_lo
	v_lshrrev_b32_e32 v65, v63, v57
	v_lshl_add_u32 v64, 0x100000, v63, -1
	v_lshlrev_b32_e64 v70, v63, 0x80000
	s_delay_alu instid0(VALU_DEP_4) | instskip(NEXT) | instid1(VALU_DEP_4)
	v_add_nc_u32_e32 v63, v63, v56
	v_bfe_u32 v69, v65, 20, 1
	s_delay_alu instid0(VALU_DEP_4) | instskip(NEXT) | instid1(VALU_DEP_2)
	v_and_b32_e32 v57, v64, v57
	v_add_nc_u32_e32 v64, -1, v69
	s_delay_alu instid0(VALU_DEP_2) | instskip(SKIP_1) | instid1(VALU_DEP_1)
	v_cmp_eq_u32_e64 s0, v57, v70
	s_wait_alu 0xf1ff
	v_cndmask_b32_e64 v57, 0, v64, s0
	v_lshrrev_b32_e32 v64, 23, v65
	s_mov_b32 s0, exec_lo
	s_delay_alu instid0(VALU_DEP_2) | instskip(NEXT) | instid1(VALU_DEP_2)
	v_add_nc_u32_e32 v57, v57, v65
	v_xor_b32_e32 v64, 1, v64
	s_delay_alu instid0(VALU_DEP_2) | instskip(NEXT) | instid1(VALU_DEP_1)
	v_and_b32_e32 v56, 0xfffff, v57
	v_add_nc_u32_e32 v57, v56, v65
                                        ; implicit-def: $vgpr56
	s_delay_alu instid0(VALU_DEP_3)
	v_cmpx_ne_u32_e64 v63, v64
	s_wait_alu 0xfffe
	s_xor_b32 s0, exec_lo, s0
; %bb.435:
	s_delay_alu instid0(VALU_DEP_2) | instskip(SKIP_3) | instid1(VALU_DEP_2)
	v_cmp_lt_u32_e32 vcc_lo, 0xffffff, v57
	v_sub_nc_u32_e32 v56, v63, v64
	s_wait_alu 0xfffd
	v_cndmask_b32_e64 v63, 0, 1, vcc_lo
	v_add_co_ci_u32_e64 v56, null, 0, v56, vcc_lo
	s_delay_alu instid0(VALU_DEP_2)
	v_lshrrev_b32_e32 v57, v63, v57
; %bb.436:
	s_wait_alu 0xfffe
	s_and_not1_saveexec_b32 s0, s0
; %bb.437:
	s_delay_alu instid0(VALU_DEP_1)
	v_bfe_u32 v56, v57, 23, 1
; %bb.438:
	s_wait_alu 0xfffe
	s_or_b32 exec_lo, exec_lo, s0
	v_lshrrev_b32_e32 v57, 20, v57
	s_delay_alu instid0(VALU_DEP_2) | instskip(SKIP_3) | instid1(VALU_DEP_2)
	v_cmp_gt_i32_e32 vcc_lo, 16, v56
	v_lshrrev_b32_e32 v64, 24, v66
	v_min_i32_e32 v63, 15, v56
	s_wait_alu 0xfffd
	v_dual_cndmask_b32 v57, 7, v57 :: v_dual_and_b32 v64, 0x80, v64
	s_delay_alu instid0(VALU_DEP_1) | instskip(SKIP_1) | instid1(VALU_DEP_2)
	v_or_b32_e32 v56, v56, v57
	v_and_b32_e32 v65, 7, v57
	v_cmp_ne_u32_e32 vcc_lo, 0, v56
	v_lshlrev_b32_e32 v63, 3, v63
	s_delay_alu instid0(VALU_DEP_1) | instskip(NEXT) | instid1(VALU_DEP_1)
	v_and_b32_e32 v63, 0xf8, v63
	v_or3_b32 v63, v64, v63, v65
	s_delay_alu instid0(VALU_DEP_1) | instskip(SKIP_1) | instid1(VALU_DEP_1)
	v_lshlrev_b32_e32 v57, 16, v63
	s_wait_alu 0xfffd
	v_cndmask_b32_e32 v56, 0, v57, vcc_lo
.LBB4_439:
	s_wait_alu 0xfffe
	s_or_b32 exec_lo, exec_lo, s6
.LBB4_440:
	s_wait_alu 0xfffe
	s_or_b32 exec_lo, exec_lo, s3
	v_and_b32_e32 v57, 0x7f800000, v67
	v_wmma_f32_16x16x16_fp8_fp8 v[0:7], v[58:59], v[10:11], v[0:7]
	s_delay_alu instid0(VALU_DEP_2)
	v_cmp_ne_u32_e32 vcc_lo, 0x7f800000, v57
	v_bfrev_b32_e32 v57, 1
	s_and_saveexec_b32 s3, vcc_lo
	s_cbranch_execz .LBB4_448
; %bb.441:
	v_mov_b32_e32 v57, 0
	s_mov_b32 s6, exec_lo
	v_cmpx_ne_u32_e32 0, v67
	s_cbranch_execz .LBB4_447
; %bb.442:
	v_bfe_u32 v57, v67, 23, 8
	v_and_b32_e32 v58, 0x7fffff, v67
	s_delay_alu instid0(VALU_DEP_2) | instskip(SKIP_1) | instid1(VALU_DEP_3)
	v_sub_nc_u32_e32 v59, 0x78, v57
	v_cmp_gt_u32_e32 vcc_lo, 0x79, v57
	v_or_b32_e32 v63, 0x800000, v58
	s_wait_alu 0xfffd
	s_delay_alu instid0(VALU_DEP_3) | instskip(SKIP_3) | instid1(VALU_DEP_3)
	v_cndmask_b32_e32 v59, 0, v59, vcc_lo
	v_cmp_eq_u32_e32 vcc_lo, 0, v57
	s_wait_alu 0xfffd
	v_dual_cndmask_b32 v58, v63, v58 :: v_dual_add_nc_u32 v57, 0xffffff89, v57
	v_cndmask_b32_e64 v59, v59, 0x77, vcc_lo
	s_delay_alu instid0(VALU_DEP_2) | instskip(NEXT) | instid1(VALU_DEP_2)
	v_cndmask_b32_e64 v57, v57, 0xffffff8a, vcc_lo
	v_lshrrev_b32_e32 v64, v59, v58
	v_lshl_add_u32 v63, 0x100000, v59, -1
	v_lshlrev_b32_e64 v66, v59, 0x80000
	s_delay_alu instid0(VALU_DEP_4) | instskip(NEXT) | instid1(VALU_DEP_4)
	v_add_nc_u32_e32 v59, v59, v57
	v_bfe_u32 v65, v64, 20, 1
	s_delay_alu instid0(VALU_DEP_4) | instskip(NEXT) | instid1(VALU_DEP_2)
	v_and_b32_e32 v58, v63, v58
	v_add_nc_u32_e32 v63, -1, v65
	s_delay_alu instid0(VALU_DEP_2) | instskip(SKIP_1) | instid1(VALU_DEP_1)
	v_cmp_eq_u32_e64 s0, v58, v66
	s_wait_alu 0xf1ff
	v_cndmask_b32_e64 v58, 0, v63, s0
	v_lshrrev_b32_e32 v63, 23, v64
	s_mov_b32 s0, exec_lo
	s_delay_alu instid0(VALU_DEP_2) | instskip(NEXT) | instid1(VALU_DEP_2)
	v_add_nc_u32_e32 v58, v58, v64
	v_xor_b32_e32 v63, 1, v63
	s_delay_alu instid0(VALU_DEP_2) | instskip(NEXT) | instid1(VALU_DEP_1)
	v_and_b32_e32 v57, 0xfffff, v58
	v_add_nc_u32_e32 v58, v57, v64
                                        ; implicit-def: $vgpr57
	s_delay_alu instid0(VALU_DEP_3)
	v_cmpx_ne_u32_e64 v59, v63
	s_wait_alu 0xfffe
	s_xor_b32 s0, exec_lo, s0
; %bb.443:
	s_delay_alu instid0(VALU_DEP_2) | instskip(SKIP_3) | instid1(VALU_DEP_2)
	v_cmp_lt_u32_e32 vcc_lo, 0xffffff, v58
	v_sub_nc_u32_e32 v57, v59, v63
	s_wait_alu 0xfffd
	v_cndmask_b32_e64 v59, 0, 1, vcc_lo
	v_add_co_ci_u32_e64 v57, null, 0, v57, vcc_lo
	s_delay_alu instid0(VALU_DEP_2)
	v_lshrrev_b32_e32 v58, v59, v58
; %bb.444:
	s_wait_alu 0xfffe
	s_and_not1_saveexec_b32 s0, s0
; %bb.445:
	s_delay_alu instid0(VALU_DEP_1)
	v_bfe_u32 v57, v58, 23, 1
; %bb.446:
	s_wait_alu 0xfffe
	s_or_b32 exec_lo, exec_lo, s0
	v_lshrrev_b32_e32 v58, 20, v58
	s_delay_alu instid0(VALU_DEP_2) | instskip(SKIP_3) | instid1(VALU_DEP_2)
	v_cmp_gt_i32_e32 vcc_lo, 16, v57
	v_lshrrev_b32_e32 v59, 24, v67
	v_min_i32_e32 v63, 15, v57
	s_wait_alu 0xfffd
	v_dual_cndmask_b32 v58, 7, v58 :: v_dual_and_b32 v59, 0x80, v59
	s_delay_alu instid0(VALU_DEP_2) | instskip(NEXT) | instid1(VALU_DEP_2)
	v_lshlrev_b32_e32 v63, 3, v63
	v_and_b32_e32 v64, 7, v58
	v_or_b32_e32 v57, v57, v58
	s_delay_alu instid0(VALU_DEP_2) | instskip(NEXT) | instid1(VALU_DEP_2)
	v_or3_b32 v59, v59, v63, v64
	v_cmp_ne_u32_e32 vcc_lo, 0, v57
	s_delay_alu instid0(VALU_DEP_2) | instskip(SKIP_1) | instid1(VALU_DEP_1)
	v_lshlrev_b32_e32 v58, 24, v59
	s_wait_alu 0xfffd
	v_cndmask_b32_e32 v57, 0, v58, vcc_lo
.LBB4_447:
	s_wait_alu 0xfffe
	s_or_b32 exec_lo, exec_lo, s6
.LBB4_448:
	s_wait_alu 0xfffe
	s_or_b32 exec_lo, exec_lo, s3
	v_or_b32_e32 v58, v62, v61
	s_mov_b32 s6, s1
	s_delay_alu instid0(VALU_DEP_1)
	v_or3_b32 v56, v56, v58, v57
	buffer_store_b32 v56, v60, s[4:7], null offen offset:4
	s_wait_dscnt 0x0
	s_barrier_signal -1
	s_barrier_wait -1
	ds_store_2addr_stride64_b32 v93, v0, v1 offset1:1
	ds_store_2addr_stride64_b32 v93, v2, v3 offset0:2 offset1:3
	ds_store_2addr_stride64_b32 v93, v4, v5 offset0:4 offset1:5
	;; [unrolled: 1-line block ×3, first 2 shown]
	s_wait_dscnt 0x0
	s_barrier_signal -1
	s_barrier_wait -1
	ds_load_b128 v[0:3], v92
	s_wait_dscnt 0x0
	v_and_b32_e32 v4, 0x7f800000, v0
	s_delay_alu instid0(VALU_DEP_1)
	v_cmp_ne_u32_e32 vcc_lo, 0x7f800000, v4
	v_mov_b32_e32 v4, 0x80
	s_and_saveexec_b32 s3, vcc_lo
	s_cbranch_execz .LBB4_456
; %bb.449:
	v_mov_b32_e32 v4, 0
	s_mov_b32 s6, exec_lo
	v_cmpx_ne_u32_e32 0, v0
	s_cbranch_execz .LBB4_455
; %bb.450:
	v_bfe_u32 v4, v0, 23, 8
	s_delay_alu instid0(VALU_DEP_1) | instskip(SKIP_2) | instid1(VALU_DEP_2)
	v_sub_nc_u32_e32 v6, 0x78, v4
	v_cmp_gt_u32_e32 vcc_lo, 0x79, v4
	s_wait_alu 0xfffd
	v_dual_cndmask_b32 v6, 0, v6 :: v_dual_and_b32 v5, 0x7fffff, v0
	s_delay_alu instid0(VALU_DEP_1) | instskip(SKIP_2) | instid1(VALU_DEP_2)
	v_or_b32_e32 v7, 0x800000, v5
	v_cmp_eq_u32_e32 vcc_lo, 0, v4
	s_wait_alu 0xfffd
	v_dual_cndmask_b32 v5, v7, v5 :: v_dual_add_nc_u32 v4, 0xffffff89, v4
	v_cndmask_b32_e64 v6, v6, 0x77, vcc_lo
	s_delay_alu instid0(VALU_DEP_2) | instskip(NEXT) | instid1(VALU_DEP_2)
	v_cndmask_b32_e64 v4, v4, 0xffffff8a, vcc_lo
	v_lshrrev_b32_e32 v56, v6, v5
	v_lshl_add_u32 v7, 0x100000, v6, -1
	v_lshlrev_b32_e64 v58, v6, 0x80000
	s_delay_alu instid0(VALU_DEP_4) | instskip(NEXT) | instid1(VALU_DEP_4)
	v_add_nc_u32_e32 v6, v6, v4
	v_bfe_u32 v57, v56, 20, 1
	s_delay_alu instid0(VALU_DEP_4) | instskip(NEXT) | instid1(VALU_DEP_2)
	v_and_b32_e32 v5, v7, v5
	v_add_nc_u32_e32 v7, -1, v57
	s_delay_alu instid0(VALU_DEP_2) | instskip(SKIP_1) | instid1(VALU_DEP_1)
	v_cmp_eq_u32_e64 s0, v5, v58
	s_wait_alu 0xf1ff
	v_cndmask_b32_e64 v5, 0, v7, s0
	v_lshrrev_b32_e32 v7, 23, v56
	s_mov_b32 s0, exec_lo
	s_delay_alu instid0(VALU_DEP_2) | instskip(NEXT) | instid1(VALU_DEP_2)
	v_add_nc_u32_e32 v5, v5, v56
	v_xor_b32_e32 v7, 1, v7
	s_delay_alu instid0(VALU_DEP_2) | instskip(NEXT) | instid1(VALU_DEP_1)
	v_and_b32_e32 v4, 0xfffff, v5
	v_add_nc_u32_e32 v5, v4, v56
                                        ; implicit-def: $vgpr4
	s_delay_alu instid0(VALU_DEP_3)
	v_cmpx_ne_u32_e64 v6, v7
	s_wait_alu 0xfffe
	s_xor_b32 s0, exec_lo, s0
; %bb.451:
	s_delay_alu instid0(VALU_DEP_2) | instskip(SKIP_3) | instid1(VALU_DEP_2)
	v_cmp_lt_u32_e32 vcc_lo, 0xffffff, v5
	v_sub_nc_u32_e32 v4, v6, v7
	s_wait_alu 0xfffd
	v_cndmask_b32_e64 v6, 0, 1, vcc_lo
	v_add_co_ci_u32_e64 v4, null, 0, v4, vcc_lo
	s_delay_alu instid0(VALU_DEP_2)
	v_lshrrev_b32_e32 v5, v6, v5
; %bb.452:
	s_wait_alu 0xfffe
	s_and_not1_saveexec_b32 s0, s0
; %bb.453:
	s_delay_alu instid0(VALU_DEP_1)
	v_bfe_u32 v4, v5, 23, 1
; %bb.454:
	s_wait_alu 0xfffe
	s_or_b32 exec_lo, exec_lo, s0
	v_lshrrev_b32_e32 v5, 20, v5
	s_delay_alu instid0(VALU_DEP_2) | instskip(SKIP_3) | instid1(VALU_DEP_2)
	v_cmp_gt_i32_e32 vcc_lo, 16, v4
	v_min_i32_e32 v6, 15, v4
	v_lshrrev_b32_e32 v0, 24, v0
	s_wait_alu 0xfffd
	v_dual_cndmask_b32 v5, 7, v5 :: v_dual_lshlrev_b32 v6, 3, v6
	s_delay_alu instid0(VALU_DEP_2) | instskip(NEXT) | instid1(VALU_DEP_2)
	v_and_b32_e32 v0, 0x80, v0
	v_or_b32_e32 v4, v4, v5
	s_delay_alu instid0(VALU_DEP_3) | instskip(NEXT) | instid1(VALU_DEP_2)
	v_and_b32_e32 v6, 0xf8, v6
	v_cmp_ne_u32_e32 vcc_lo, 0, v4
	v_and_b32_e32 v7, 7, v5
	s_delay_alu instid0(VALU_DEP_1) | instskip(SKIP_1) | instid1(VALU_DEP_1)
	v_or3_b32 v0, v6, v0, v7
	s_wait_alu 0xfffd
	v_cndmask_b32_e32 v4, 0, v0, vcc_lo
.LBB4_455:
	s_wait_alu 0xfffe
	s_or_b32 exec_lo, exec_lo, s6
.LBB4_456:
	s_wait_alu 0xfffe
	s_or_b32 exec_lo, exec_lo, s3
	v_and_b32_e32 v0, 0x7f800000, v1
	s_delay_alu instid0(VALU_DEP_1)
	v_cmp_ne_u32_e32 vcc_lo, 0x7f800000, v0
	v_mov_b32_e32 v0, 0x8000
	s_and_saveexec_b32 s3, vcc_lo
	s_cbranch_execz .LBB4_464
; %bb.457:
	v_mov_b32_e32 v0, 0
	s_mov_b32 s6, exec_lo
	v_cmpx_ne_u32_e32 0, v1
	s_cbranch_execz .LBB4_463
; %bb.458:
	v_bfe_u32 v0, v1, 23, 8
	s_delay_alu instid0(VALU_DEP_1) | instskip(SKIP_2) | instid1(VALU_DEP_2)
	v_sub_nc_u32_e32 v6, 0x78, v0
	v_cmp_gt_u32_e32 vcc_lo, 0x79, v0
	s_wait_alu 0xfffd
	v_dual_cndmask_b32 v6, 0, v6 :: v_dual_and_b32 v5, 0x7fffff, v1
	s_delay_alu instid0(VALU_DEP_1) | instskip(SKIP_2) | instid1(VALU_DEP_2)
	v_or_b32_e32 v7, 0x800000, v5
	v_cmp_eq_u32_e32 vcc_lo, 0, v0
	s_wait_alu 0xfffd
	v_dual_cndmask_b32 v5, v7, v5 :: v_dual_add_nc_u32 v0, 0xffffff89, v0
	v_cndmask_b32_e64 v6, v6, 0x77, vcc_lo
	s_delay_alu instid0(VALU_DEP_2) | instskip(NEXT) | instid1(VALU_DEP_2)
	v_cndmask_b32_e64 v0, v0, 0xffffff8a, vcc_lo
	v_lshrrev_b32_e32 v56, v6, v5
	v_lshl_add_u32 v7, 0x100000, v6, -1
	v_lshlrev_b32_e64 v58, v6, 0x80000
	s_delay_alu instid0(VALU_DEP_4) | instskip(NEXT) | instid1(VALU_DEP_4)
	v_add_nc_u32_e32 v6, v6, v0
	v_bfe_u32 v57, v56, 20, 1
	s_delay_alu instid0(VALU_DEP_4) | instskip(NEXT) | instid1(VALU_DEP_2)
	v_and_b32_e32 v5, v7, v5
	v_add_nc_u32_e32 v7, -1, v57
	s_delay_alu instid0(VALU_DEP_2) | instskip(SKIP_1) | instid1(VALU_DEP_1)
	v_cmp_eq_u32_e64 s0, v5, v58
	s_wait_alu 0xf1ff
	v_cndmask_b32_e64 v5, 0, v7, s0
	v_lshrrev_b32_e32 v7, 23, v56
	s_mov_b32 s0, exec_lo
	s_delay_alu instid0(VALU_DEP_2) | instskip(NEXT) | instid1(VALU_DEP_2)
	v_add_nc_u32_e32 v5, v5, v56
	v_xor_b32_e32 v7, 1, v7
	s_delay_alu instid0(VALU_DEP_2) | instskip(NEXT) | instid1(VALU_DEP_1)
	v_and_b32_e32 v0, 0xfffff, v5
	v_add_nc_u32_e32 v5, v0, v56
                                        ; implicit-def: $vgpr0
	s_delay_alu instid0(VALU_DEP_3)
	v_cmpx_ne_u32_e64 v6, v7
	s_wait_alu 0xfffe
	s_xor_b32 s0, exec_lo, s0
; %bb.459:
	s_delay_alu instid0(VALU_DEP_2) | instskip(SKIP_3) | instid1(VALU_DEP_2)
	v_cmp_lt_u32_e32 vcc_lo, 0xffffff, v5
	v_sub_nc_u32_e32 v0, v6, v7
	s_wait_alu 0xfffd
	v_cndmask_b32_e64 v6, 0, 1, vcc_lo
	v_add_co_ci_u32_e64 v0, null, 0, v0, vcc_lo
	s_delay_alu instid0(VALU_DEP_2)
	v_lshrrev_b32_e32 v5, v6, v5
; %bb.460:
	s_wait_alu 0xfffe
	s_and_not1_saveexec_b32 s0, s0
; %bb.461:
	s_delay_alu instid0(VALU_DEP_1)
	v_bfe_u32 v0, v5, 23, 1
; %bb.462:
	s_wait_alu 0xfffe
	s_or_b32 exec_lo, exec_lo, s0
	v_lshrrev_b32_e32 v5, 20, v5
	s_delay_alu instid0(VALU_DEP_2) | instskip(SKIP_3) | instid1(VALU_DEP_3)
	v_min_i32_e32 v6, 15, v0
	v_cmp_gt_i32_e32 vcc_lo, 16, v0
	v_lshrrev_b32_e32 v1, 24, v1
	s_wait_alu 0xfffd
	v_dual_cndmask_b32 v5, 7, v5 :: v_dual_lshlrev_b32 v6, 3, v6
	s_delay_alu instid0(VALU_DEP_2) | instskip(NEXT) | instid1(VALU_DEP_2)
	v_and_b32_e32 v1, 0x80, v1
	v_and_b32_e32 v6, 0xf8, v6
	s_delay_alu instid0(VALU_DEP_3) | instskip(SKIP_1) | instid1(VALU_DEP_2)
	v_and_b32_e32 v7, 7, v5
	v_or_b32_e32 v0, v0, v5
	v_or3_b32 v1, v1, v6, v7
	s_delay_alu instid0(VALU_DEP_2) | instskip(NEXT) | instid1(VALU_DEP_2)
	v_cmp_ne_u32_e32 vcc_lo, 0, v0
	v_lshlrev_b32_e32 v1, 8, v1
	s_wait_alu 0xfffd
	s_delay_alu instid0(VALU_DEP_1)
	v_cndmask_b32_e32 v0, 0, v1, vcc_lo
.LBB4_463:
	s_wait_alu 0xfffe
	s_or_b32 exec_lo, exec_lo, s6
.LBB4_464:
	s_wait_alu 0xfffe
	s_or_b32 exec_lo, exec_lo, s3
	v_and_b32_e32 v1, 0x7f800000, v2
	v_mov_b32_e32 v61, 0x800000
	s_mov_b32 s3, exec_lo
	s_delay_alu instid0(VALU_DEP_2)
	v_cmpx_ne_u32_e32 0x7f800000, v1
	s_cbranch_execz .LBB4_472
; %bb.465:
	v_mov_b32_e32 v61, 0
	s_mov_b32 s6, exec_lo
	v_cmpx_ne_u32_e32 0, v2
	s_cbranch_execz .LBB4_471
; %bb.466:
	v_bfe_u32 v1, v2, 23, 8
	v_and_b32_e32 v5, 0x7fffff, v2
	s_delay_alu instid0(VALU_DEP_2) | instskip(SKIP_1) | instid1(VALU_DEP_3)
	v_sub_nc_u32_e32 v6, 0x78, v1
	v_cmp_gt_u32_e32 vcc_lo, 0x79, v1
	v_or_b32_e32 v7, 0x800000, v5
	s_wait_alu 0xfffd
	s_delay_alu instid0(VALU_DEP_3)
	v_cndmask_b32_e32 v6, 0, v6, vcc_lo
	v_cmp_eq_u32_e32 vcc_lo, 0, v1
	v_add_nc_u32_e32 v1, 0xffffff89, v1
	s_wait_alu 0xfffd
	v_cndmask_b32_e32 v5, v7, v5, vcc_lo
	v_cndmask_b32_e64 v6, v6, 0x77, vcc_lo
	s_delay_alu instid0(VALU_DEP_3) | instskip(NEXT) | instid1(VALU_DEP_2)
	v_cndmask_b32_e64 v1, v1, 0xffffff8a, vcc_lo
	v_lshrrev_b32_e32 v56, v6, v5
	v_lshl_add_u32 v7, 0x100000, v6, -1
	v_lshlrev_b32_e64 v58, v6, 0x80000
	s_delay_alu instid0(VALU_DEP_4) | instskip(NEXT) | instid1(VALU_DEP_4)
	v_add_nc_u32_e32 v6, v6, v1
	v_bfe_u32 v57, v56, 20, 1
	s_delay_alu instid0(VALU_DEP_4) | instskip(NEXT) | instid1(VALU_DEP_2)
	v_and_b32_e32 v5, v7, v5
	v_add_nc_u32_e32 v7, -1, v57
	s_delay_alu instid0(VALU_DEP_2) | instskip(SKIP_1) | instid1(VALU_DEP_1)
	v_cmp_eq_u32_e64 s0, v5, v58
	s_wait_alu 0xf1ff
	v_cndmask_b32_e64 v5, 0, v7, s0
	v_lshrrev_b32_e32 v7, 23, v56
	s_mov_b32 s0, exec_lo
	s_delay_alu instid0(VALU_DEP_2) | instskip(NEXT) | instid1(VALU_DEP_2)
	v_add_nc_u32_e32 v5, v5, v56
	v_xor_b32_e32 v7, 1, v7
	s_delay_alu instid0(VALU_DEP_2) | instskip(NEXT) | instid1(VALU_DEP_1)
	v_and_b32_e32 v1, 0xfffff, v5
	v_add_nc_u32_e32 v5, v1, v56
                                        ; implicit-def: $vgpr1
	s_delay_alu instid0(VALU_DEP_3)
	v_cmpx_ne_u32_e64 v6, v7
	s_wait_alu 0xfffe
	s_xor_b32 s0, exec_lo, s0
; %bb.467:
	s_delay_alu instid0(VALU_DEP_2) | instskip(SKIP_3) | instid1(VALU_DEP_2)
	v_cmp_lt_u32_e32 vcc_lo, 0xffffff, v5
	v_sub_nc_u32_e32 v1, v6, v7
	s_wait_alu 0xfffd
	v_cndmask_b32_e64 v6, 0, 1, vcc_lo
	v_add_co_ci_u32_e64 v1, null, 0, v1, vcc_lo
	s_delay_alu instid0(VALU_DEP_2)
	v_lshrrev_b32_e32 v5, v6, v5
; %bb.468:
	s_wait_alu 0xfffe
	s_and_not1_saveexec_b32 s0, s0
; %bb.469:
	s_delay_alu instid0(VALU_DEP_1)
	v_bfe_u32 v1, v5, 23, 1
; %bb.470:
	s_wait_alu 0xfffe
	s_or_b32 exec_lo, exec_lo, s0
	v_lshrrev_b32_e32 v5, 20, v5
	s_delay_alu instid0(VALU_DEP_2) | instskip(SKIP_3) | instid1(VALU_DEP_3)
	v_min_i32_e32 v6, 15, v1
	v_cmp_gt_i32_e32 vcc_lo, 16, v1
	v_lshrrev_b32_e32 v2, 24, v2
	s_wait_alu 0xfffd
	v_dual_cndmask_b32 v5, 7, v5 :: v_dual_lshlrev_b32 v6, 3, v6
	s_delay_alu instid0(VALU_DEP_2) | instskip(NEXT) | instid1(VALU_DEP_2)
	v_and_b32_e32 v2, 0x80, v2
	v_and_b32_e32 v6, 0xf8, v6
	s_delay_alu instid0(VALU_DEP_3) | instskip(SKIP_1) | instid1(VALU_DEP_2)
	v_and_b32_e32 v7, 7, v5
	v_or_b32_e32 v1, v1, v5
	v_or3_b32 v2, v2, v6, v7
	s_delay_alu instid0(VALU_DEP_2) | instskip(NEXT) | instid1(VALU_DEP_2)
	v_cmp_ne_u32_e32 vcc_lo, 0, v1
	v_lshlrev_b32_e32 v2, 16, v2
	s_wait_alu 0xfffd
	s_delay_alu instid0(VALU_DEP_1)
	v_cndmask_b32_e32 v61, 0, v2, vcc_lo
.LBB4_471:
	s_wait_alu 0xfffe
	s_or_b32 exec_lo, exec_lo, s6
.LBB4_472:
	s_wait_alu 0xfffe
	s_or_b32 exec_lo, exec_lo, s3
	v_and_b32_e32 v1, 0x7f800000, v3
	v_bfrev_b32_e32 v62, 1
	s_mov_b32 s3, exec_lo
	s_delay_alu instid0(VALU_DEP_2)
	v_cmpx_ne_u32_e32 0x7f800000, v1
	s_cbranch_execz .LBB4_480
; %bb.473:
	v_mov_b32_e32 v62, 0
	s_mov_b32 s6, exec_lo
	v_cmpx_ne_u32_e32 0, v3
	s_cbranch_execz .LBB4_479
; %bb.474:
	v_bfe_u32 v1, v3, 23, 8
	s_delay_alu instid0(VALU_DEP_1) | instskip(SKIP_2) | instid1(VALU_DEP_2)
	v_sub_nc_u32_e32 v5, 0x78, v1
	v_cmp_gt_u32_e32 vcc_lo, 0x79, v1
	s_wait_alu 0xfffd
	v_dual_cndmask_b32 v5, 0, v5 :: v_dual_and_b32 v2, 0x7fffff, v3
	s_delay_alu instid0(VALU_DEP_1) | instskip(SKIP_2) | instid1(VALU_DEP_2)
	v_or_b32_e32 v6, 0x800000, v2
	v_cmp_eq_u32_e32 vcc_lo, 0, v1
	s_wait_alu 0xfffd
	v_dual_cndmask_b32 v2, v6, v2 :: v_dual_add_nc_u32 v1, 0xffffff89, v1
	v_cndmask_b32_e64 v5, v5, 0x77, vcc_lo
	s_delay_alu instid0(VALU_DEP_2) | instskip(NEXT) | instid1(VALU_DEP_2)
	v_cndmask_b32_e64 v1, v1, 0xffffff8a, vcc_lo
	v_lshrrev_b32_e32 v7, v5, v2
	v_lshl_add_u32 v6, 0x100000, v5, -1
	v_lshlrev_b32_e64 v57, v5, 0x80000
	s_delay_alu instid0(VALU_DEP_4) | instskip(NEXT) | instid1(VALU_DEP_4)
	v_add_nc_u32_e32 v5, v5, v1
	v_bfe_u32 v56, v7, 20, 1
	s_delay_alu instid0(VALU_DEP_4) | instskip(NEXT) | instid1(VALU_DEP_2)
	v_and_b32_e32 v2, v6, v2
	v_add_nc_u32_e32 v6, -1, v56
	s_delay_alu instid0(VALU_DEP_2) | instskip(SKIP_1) | instid1(VALU_DEP_1)
	v_cmp_eq_u32_e64 s0, v2, v57
	s_wait_alu 0xf1ff
	v_cndmask_b32_e64 v2, 0, v6, s0
	v_lshrrev_b32_e32 v6, 23, v7
	s_mov_b32 s0, exec_lo
	s_delay_alu instid0(VALU_DEP_2) | instskip(NEXT) | instid1(VALU_DEP_2)
	v_add_nc_u32_e32 v2, v2, v7
	v_xor_b32_e32 v6, 1, v6
	s_delay_alu instid0(VALU_DEP_2) | instskip(NEXT) | instid1(VALU_DEP_1)
	v_and_b32_e32 v1, 0xfffff, v2
	v_add_nc_u32_e32 v2, v1, v7
                                        ; implicit-def: $vgpr1
	s_delay_alu instid0(VALU_DEP_3)
	v_cmpx_ne_u32_e64 v5, v6
	s_wait_alu 0xfffe
	s_xor_b32 s0, exec_lo, s0
; %bb.475:
	s_delay_alu instid0(VALU_DEP_2) | instskip(SKIP_3) | instid1(VALU_DEP_2)
	v_cmp_lt_u32_e32 vcc_lo, 0xffffff, v2
	v_sub_nc_u32_e32 v1, v5, v6
	s_wait_alu 0xfffd
	v_cndmask_b32_e64 v5, 0, 1, vcc_lo
	v_add_co_ci_u32_e64 v1, null, 0, v1, vcc_lo
	s_delay_alu instid0(VALU_DEP_2)
	v_lshrrev_b32_e32 v2, v5, v2
; %bb.476:
	s_wait_alu 0xfffe
	s_and_not1_saveexec_b32 s0, s0
; %bb.477:
	s_delay_alu instid0(VALU_DEP_1)
	v_bfe_u32 v1, v2, 23, 1
; %bb.478:
	s_wait_alu 0xfffe
	s_or_b32 exec_lo, exec_lo, s0
	v_lshrrev_b32_e32 v2, 20, v2
	s_delay_alu instid0(VALU_DEP_2) | instskip(SKIP_3) | instid1(VALU_DEP_2)
	v_cmp_gt_i32_e32 vcc_lo, 16, v1
	v_lshrrev_b32_e32 v3, 24, v3
	v_min_i32_e32 v5, 15, v1
	s_wait_alu 0xfffd
	v_dual_cndmask_b32 v2, 7, v2 :: v_dual_and_b32 v3, 0x80, v3
	s_delay_alu instid0(VALU_DEP_1) | instskip(SKIP_1) | instid1(VALU_DEP_2)
	v_or_b32_e32 v1, v1, v2
	v_and_b32_e32 v6, 7, v2
	v_cmp_ne_u32_e32 vcc_lo, 0, v1
	v_lshlrev_b32_e32 v5, 3, v5
	s_delay_alu instid0(VALU_DEP_1) | instskip(NEXT) | instid1(VALU_DEP_1)
	v_or3_b32 v3, v3, v5, v6
	v_lshlrev_b32_e32 v2, 24, v3
	s_wait_alu 0xfffd
	s_delay_alu instid0(VALU_DEP_1)
	v_cndmask_b32_e32 v62, 0, v2, vcc_lo
.LBB4_479:
	s_wait_alu 0xfffe
	s_or_b32 exec_lo, exec_lo, s6
.LBB4_480:
	s_wait_alu 0xfffe
	s_or_b32 exec_lo, exec_lo, s3
	ds_load_b128 v[56:59], v92 offset:16
	v_or_b32_e32 v63, v0, v4
	v_wmma_f32_16x16x16_fp8_fp8 v[0:7], v[52:53], v[16:17], 0
	v_add_nc_u32_e32 v60, s2, v68
	s_mov_b32 s6, s1
	s_delay_alu instid0(VALU_DEP_3)
	v_or3_b32 v62, v61, v63, v62
	v_mov_b32_e32 v61, 0x80
	s_mov_b32 s3, exec_lo
	buffer_store_b32 v62, v60, s[4:7], null offen
	s_wait_dscnt 0x0
	v_and_b32_e32 v64, 0x7f800000, v56
	s_delay_alu instid0(VALU_DEP_1)
	v_cmpx_ne_u32_e32 0x7f800000, v64
	s_cbranch_execz .LBB4_488
; %bb.481:
	v_mov_b32_e32 v61, 0
	s_mov_b32 s6, exec_lo
	v_cmpx_ne_u32_e32 0, v56
	s_cbranch_execz .LBB4_487
; %bb.482:
	v_bfe_u32 v61, v56, 23, 8
	s_delay_alu instid0(VALU_DEP_1) | instskip(SKIP_2) | instid1(VALU_DEP_2)
	v_sub_nc_u32_e32 v63, 0x78, v61
	v_cmp_gt_u32_e32 vcc_lo, 0x79, v61
	s_wait_alu 0xfffd
	v_dual_cndmask_b32 v63, 0, v63 :: v_dual_and_b32 v62, 0x7fffff, v56
	s_delay_alu instid0(VALU_DEP_1) | instskip(SKIP_2) | instid1(VALU_DEP_2)
	v_or_b32_e32 v64, 0x800000, v62
	v_cmp_eq_u32_e32 vcc_lo, 0, v61
	s_wait_alu 0xfffd
	v_dual_cndmask_b32 v62, v64, v62 :: v_dual_add_nc_u32 v61, 0xffffff89, v61
	v_cndmask_b32_e64 v63, v63, 0x77, vcc_lo
	s_delay_alu instid0(VALU_DEP_2) | instskip(NEXT) | instid1(VALU_DEP_2)
	v_cndmask_b32_e64 v61, v61, 0xffffff8a, vcc_lo
	v_lshrrev_b32_e32 v65, v63, v62
	v_lshl_add_u32 v64, 0x100000, v63, -1
	v_lshlrev_b32_e64 v67, v63, 0x80000
	s_delay_alu instid0(VALU_DEP_4) | instskip(NEXT) | instid1(VALU_DEP_4)
	v_add_nc_u32_e32 v63, v63, v61
	v_bfe_u32 v66, v65, 20, 1
	s_delay_alu instid0(VALU_DEP_4) | instskip(NEXT) | instid1(VALU_DEP_2)
	v_and_b32_e32 v62, v64, v62
	v_add_nc_u32_e32 v64, -1, v66
	s_delay_alu instid0(VALU_DEP_2) | instskip(SKIP_1) | instid1(VALU_DEP_1)
	v_cmp_eq_u32_e64 s0, v62, v67
	s_wait_alu 0xf1ff
	v_cndmask_b32_e64 v62, 0, v64, s0
	v_lshrrev_b32_e32 v64, 23, v65
	s_mov_b32 s0, exec_lo
	s_delay_alu instid0(VALU_DEP_2) | instskip(NEXT) | instid1(VALU_DEP_2)
	v_add_nc_u32_e32 v62, v62, v65
	v_xor_b32_e32 v64, 1, v64
	s_delay_alu instid0(VALU_DEP_2) | instskip(NEXT) | instid1(VALU_DEP_1)
	v_and_b32_e32 v61, 0xfffff, v62
	v_add_nc_u32_e32 v62, v61, v65
                                        ; implicit-def: $vgpr61
	s_delay_alu instid0(VALU_DEP_3)
	v_cmpx_ne_u32_e64 v63, v64
	s_wait_alu 0xfffe
	s_xor_b32 s0, exec_lo, s0
; %bb.483:
	s_delay_alu instid0(VALU_DEP_2) | instskip(SKIP_3) | instid1(VALU_DEP_2)
	v_cmp_lt_u32_e32 vcc_lo, 0xffffff, v62
	v_sub_nc_u32_e32 v61, v63, v64
	s_wait_alu 0xfffd
	v_cndmask_b32_e64 v63, 0, 1, vcc_lo
	v_add_co_ci_u32_e64 v61, null, 0, v61, vcc_lo
	s_delay_alu instid0(VALU_DEP_2)
	v_lshrrev_b32_e32 v62, v63, v62
; %bb.484:
	s_wait_alu 0xfffe
	s_and_not1_saveexec_b32 s0, s0
; %bb.485:
	s_delay_alu instid0(VALU_DEP_1)
	v_bfe_u32 v61, v62, 23, 1
; %bb.486:
	s_wait_alu 0xfffe
	s_or_b32 exec_lo, exec_lo, s0
	v_lshrrev_b32_e32 v62, 20, v62
	s_delay_alu instid0(VALU_DEP_2) | instskip(SKIP_3) | instid1(VALU_DEP_2)
	v_cmp_gt_i32_e32 vcc_lo, 16, v61
	v_min_i32_e32 v63, 15, v61
	v_lshrrev_b32_e32 v56, 24, v56
	s_wait_alu 0xfffd
	v_dual_cndmask_b32 v62, 7, v62 :: v_dual_lshlrev_b32 v63, 3, v63
	s_delay_alu instid0(VALU_DEP_2) | instskip(NEXT) | instid1(VALU_DEP_2)
	v_and_b32_e32 v56, 0x80, v56
	v_or_b32_e32 v61, v61, v62
	s_delay_alu instid0(VALU_DEP_3) | instskip(NEXT) | instid1(VALU_DEP_2)
	v_and_b32_e32 v63, 0xf8, v63
	v_cmp_ne_u32_e32 vcc_lo, 0, v61
	v_and_b32_e32 v64, 7, v62
	s_delay_alu instid0(VALU_DEP_1) | instskip(SKIP_1) | instid1(VALU_DEP_1)
	v_or3_b32 v56, v63, v56, v64
	s_wait_alu 0xfffd
	v_cndmask_b32_e32 v61, 0, v56, vcc_lo
.LBB4_487:
	s_wait_alu 0xfffe
	s_or_b32 exec_lo, exec_lo, s6
.LBB4_488:
	s_delay_alu instid0(SALU_CYCLE_1) | instskip(SKIP_2) | instid1(VALU_DEP_2)
	s_or_b32 exec_lo, exec_lo, s3
	v_and_b32_e32 v56, 0x7f800000, v57
	v_wmma_f32_16x16x16_fp8_fp8 v[0:7], v[54:55], v[18:19], v[0:7]
	v_cmp_ne_u32_e32 vcc_lo, 0x7f800000, v56
	v_mov_b32_e32 v56, 0x8000
	s_and_saveexec_b32 s3, vcc_lo
	s_cbranch_execz .LBB4_496
; %bb.489:
	v_mov_b32_e32 v56, 0
	s_mov_b32 s6, exec_lo
	v_cmpx_ne_u32_e32 0, v57
	s_cbranch_execz .LBB4_495
; %bb.490:
	v_bfe_u32 v56, v57, 23, 8
	s_delay_alu instid0(VALU_DEP_1) | instskip(SKIP_2) | instid1(VALU_DEP_2)
	v_sub_nc_u32_e32 v63, 0x78, v56
	v_cmp_gt_u32_e32 vcc_lo, 0x79, v56
	s_wait_alu 0xfffd
	v_dual_cndmask_b32 v63, 0, v63 :: v_dual_and_b32 v62, 0x7fffff, v57
	s_delay_alu instid0(VALU_DEP_1) | instskip(SKIP_4) | instid1(VALU_DEP_2)
	v_or_b32_e32 v64, 0x800000, v62
	v_cmp_eq_u32_e32 vcc_lo, 0, v56
	v_add_nc_u32_e32 v56, 0xffffff89, v56
	s_wait_alu 0xfffd
	v_cndmask_b32_e64 v63, v63, 0x77, vcc_lo
	v_cndmask_b32_e64 v56, v56, 0xffffff8a, vcc_lo
	v_cndmask_b32_e32 v62, v64, v62, vcc_lo
	s_delay_alu instid0(VALU_DEP_3) | instskip(SKIP_1) | instid1(VALU_DEP_3)
	v_lshl_add_u32 v64, 0x100000, v63, -1
	v_lshlrev_b32_e64 v67, v63, 0x80000
	v_lshrrev_b32_e32 v65, v63, v62
	v_add_nc_u32_e32 v63, v63, v56
	s_delay_alu instid0(VALU_DEP_4) | instskip(NEXT) | instid1(VALU_DEP_3)
	v_and_b32_e32 v62, v64, v62
	v_bfe_u32 v66, v65, 20, 1
	s_delay_alu instid0(VALU_DEP_2) | instskip(NEXT) | instid1(VALU_DEP_2)
	v_cmp_eq_u32_e64 s0, v62, v67
	v_add_nc_u32_e32 v64, -1, v66
	s_wait_alu 0xf1ff
	s_delay_alu instid0(VALU_DEP_1) | instskip(SKIP_2) | instid1(VALU_DEP_2)
	v_cndmask_b32_e64 v62, 0, v64, s0
	v_lshrrev_b32_e32 v64, 23, v65
	s_mov_b32 s0, exec_lo
	v_add_nc_u32_e32 v62, v62, v65
	s_delay_alu instid0(VALU_DEP_2) | instskip(NEXT) | instid1(VALU_DEP_2)
	v_xor_b32_e32 v64, 1, v64
	v_and_b32_e32 v56, 0xfffff, v62
	s_delay_alu instid0(VALU_DEP_1) | instskip(NEXT) | instid1(VALU_DEP_3)
	v_add_nc_u32_e32 v62, v56, v65
                                        ; implicit-def: $vgpr56
	v_cmpx_ne_u32_e64 v63, v64
	s_wait_alu 0xfffe
	s_xor_b32 s0, exec_lo, s0
; %bb.491:
	s_delay_alu instid0(VALU_DEP_2) | instskip(SKIP_3) | instid1(VALU_DEP_2)
	v_cmp_lt_u32_e32 vcc_lo, 0xffffff, v62
	v_sub_nc_u32_e32 v56, v63, v64
	s_wait_alu 0xfffd
	v_cndmask_b32_e64 v63, 0, 1, vcc_lo
	v_add_co_ci_u32_e64 v56, null, 0, v56, vcc_lo
	s_delay_alu instid0(VALU_DEP_2)
	v_lshrrev_b32_e32 v62, v63, v62
; %bb.492:
	s_wait_alu 0xfffe
	s_and_not1_saveexec_b32 s0, s0
; %bb.493:
	s_delay_alu instid0(VALU_DEP_1)
	v_bfe_u32 v56, v62, 23, 1
; %bb.494:
	s_wait_alu 0xfffe
	s_or_b32 exec_lo, exec_lo, s0
	v_lshrrev_b32_e32 v62, 20, v62
	s_delay_alu instid0(VALU_DEP_2) | instskip(SKIP_3) | instid1(VALU_DEP_2)
	v_cmp_gt_i32_e32 vcc_lo, 16, v56
	v_min_i32_e32 v63, 15, v56
	v_lshrrev_b32_e32 v57, 24, v57
	s_wait_alu 0xfffd
	v_dual_cndmask_b32 v62, 7, v62 :: v_dual_lshlrev_b32 v63, 3, v63
	s_delay_alu instid0(VALU_DEP_2) | instskip(NEXT) | instid1(VALU_DEP_2)
	v_and_b32_e32 v57, 0x80, v57
	v_or_b32_e32 v56, v56, v62
	v_and_b32_e32 v64, 7, v62
	s_delay_alu instid0(VALU_DEP_2) | instskip(SKIP_1) | instid1(VALU_DEP_1)
	v_cmp_ne_u32_e32 vcc_lo, 0, v56
	v_and_b32_e32 v63, 0xf8, v63
	v_or3_b32 v57, v57, v63, v64
	s_delay_alu instid0(VALU_DEP_1) | instskip(SKIP_1) | instid1(VALU_DEP_1)
	v_lshlrev_b32_e32 v57, 8, v57
	s_wait_alu 0xfffd
	v_cndmask_b32_e32 v56, 0, v57, vcc_lo
.LBB4_495:
	s_wait_alu 0xfffe
	s_or_b32 exec_lo, exec_lo, s6
.LBB4_496:
	s_wait_alu 0xfffe
	s_or_b32 exec_lo, exec_lo, s3
	v_and_b32_e32 v57, 0x7f800000, v58
	v_wmma_f32_16x16x16_fp8_fp8 v[0:7], v[48:49], v[8:9], v[0:7]
	s_delay_alu instid0(VALU_DEP_2)
	v_cmp_ne_u32_e32 vcc_lo, 0x7f800000, v57
	v_mov_b32_e32 v57, 0x800000
	s_and_saveexec_b32 s3, vcc_lo
	s_cbranch_execz .LBB4_504
; %bb.497:
	v_mov_b32_e32 v57, 0
	s_mov_b32 s6, exec_lo
	v_cmpx_ne_u32_e32 0, v58
	s_cbranch_execz .LBB4_503
; %bb.498:
	v_bfe_u32 v57, v58, 23, 8
	s_delay_alu instid0(VALU_DEP_1) | instskip(SKIP_2) | instid1(VALU_DEP_2)
	v_sub_nc_u32_e32 v63, 0x78, v57
	v_cmp_gt_u32_e32 vcc_lo, 0x79, v57
	s_wait_alu 0xfffd
	v_dual_cndmask_b32 v63, 0, v63 :: v_dual_and_b32 v62, 0x7fffff, v58
	s_delay_alu instid0(VALU_DEP_1) | instskip(SKIP_2) | instid1(VALU_DEP_2)
	v_or_b32_e32 v64, 0x800000, v62
	v_cmp_eq_u32_e32 vcc_lo, 0, v57
	s_wait_alu 0xfffd
	v_dual_cndmask_b32 v62, v64, v62 :: v_dual_add_nc_u32 v57, 0xffffff89, v57
	v_cndmask_b32_e64 v63, v63, 0x77, vcc_lo
	s_delay_alu instid0(VALU_DEP_2) | instskip(NEXT) | instid1(VALU_DEP_2)
	v_cndmask_b32_e64 v57, v57, 0xffffff8a, vcc_lo
	v_lshrrev_b32_e32 v65, v63, v62
	v_lshl_add_u32 v64, 0x100000, v63, -1
	v_lshlrev_b32_e64 v67, v63, 0x80000
	s_delay_alu instid0(VALU_DEP_4) | instskip(NEXT) | instid1(VALU_DEP_4)
	v_add_nc_u32_e32 v63, v63, v57
	v_bfe_u32 v66, v65, 20, 1
	s_delay_alu instid0(VALU_DEP_4) | instskip(NEXT) | instid1(VALU_DEP_2)
	v_and_b32_e32 v62, v64, v62
	v_add_nc_u32_e32 v64, -1, v66
	s_delay_alu instid0(VALU_DEP_2) | instskip(SKIP_1) | instid1(VALU_DEP_1)
	v_cmp_eq_u32_e64 s0, v62, v67
	s_wait_alu 0xf1ff
	v_cndmask_b32_e64 v62, 0, v64, s0
	v_lshrrev_b32_e32 v64, 23, v65
	s_mov_b32 s0, exec_lo
	s_delay_alu instid0(VALU_DEP_2) | instskip(NEXT) | instid1(VALU_DEP_2)
	v_add_nc_u32_e32 v62, v62, v65
	v_xor_b32_e32 v64, 1, v64
	s_delay_alu instid0(VALU_DEP_2) | instskip(NEXT) | instid1(VALU_DEP_1)
	v_and_b32_e32 v57, 0xfffff, v62
	v_add_nc_u32_e32 v62, v57, v65
                                        ; implicit-def: $vgpr57
	s_delay_alu instid0(VALU_DEP_3)
	v_cmpx_ne_u32_e64 v63, v64
	s_wait_alu 0xfffe
	s_xor_b32 s0, exec_lo, s0
; %bb.499:
	s_delay_alu instid0(VALU_DEP_2) | instskip(SKIP_3) | instid1(VALU_DEP_2)
	v_cmp_lt_u32_e32 vcc_lo, 0xffffff, v62
	v_sub_nc_u32_e32 v57, v63, v64
	s_wait_alu 0xfffd
	v_cndmask_b32_e64 v63, 0, 1, vcc_lo
	v_add_co_ci_u32_e64 v57, null, 0, v57, vcc_lo
	s_delay_alu instid0(VALU_DEP_2)
	v_lshrrev_b32_e32 v62, v63, v62
; %bb.500:
	s_wait_alu 0xfffe
	s_and_not1_saveexec_b32 s0, s0
; %bb.501:
	s_delay_alu instid0(VALU_DEP_1)
	v_bfe_u32 v57, v62, 23, 1
; %bb.502:
	s_wait_alu 0xfffe
	s_or_b32 exec_lo, exec_lo, s0
	v_lshrrev_b32_e32 v62, 20, v62
	s_delay_alu instid0(VALU_DEP_2) | instskip(SKIP_3) | instid1(VALU_DEP_3)
	v_min_i32_e32 v63, 15, v57
	v_cmp_gt_i32_e32 vcc_lo, 16, v57
	v_lshrrev_b32_e32 v58, 24, v58
	s_wait_alu 0xfffd
	v_dual_cndmask_b32 v62, 7, v62 :: v_dual_lshlrev_b32 v63, 3, v63
	s_delay_alu instid0(VALU_DEP_2) | instskip(NEXT) | instid1(VALU_DEP_2)
	v_and_b32_e32 v58, 0x80, v58
	v_and_b32_e32 v63, 0xf8, v63
	s_delay_alu instid0(VALU_DEP_3) | instskip(SKIP_1) | instid1(VALU_DEP_2)
	v_and_b32_e32 v64, 7, v62
	v_or_b32_e32 v57, v57, v62
	v_or3_b32 v58, v58, v63, v64
	s_delay_alu instid0(VALU_DEP_2) | instskip(NEXT) | instid1(VALU_DEP_2)
	v_cmp_ne_u32_e32 vcc_lo, 0, v57
	v_lshlrev_b32_e32 v58, 16, v58
	s_wait_alu 0xfffd
	s_delay_alu instid0(VALU_DEP_1)
	v_cndmask_b32_e32 v57, 0, v58, vcc_lo
.LBB4_503:
	s_wait_alu 0xfffe
	s_or_b32 exec_lo, exec_lo, s6
.LBB4_504:
	s_wait_alu 0xfffe
	s_or_b32 exec_lo, exec_lo, s3
	v_and_b32_e32 v58, 0x7f800000, v59
	v_wmma_f32_16x16x16_fp8_fp8 v[0:7], v[50:51], v[10:11], v[0:7]
	s_delay_alu instid0(VALU_DEP_2)
	v_cmp_ne_u32_e32 vcc_lo, 0x7f800000, v58
	v_bfrev_b32_e32 v58, 1
	s_and_saveexec_b32 s3, vcc_lo
	s_cbranch_execz .LBB4_512
; %bb.505:
	v_mov_b32_e32 v58, 0
	s_mov_b32 s6, exec_lo
	v_cmpx_ne_u32_e32 0, v59
	s_cbranch_execz .LBB4_511
; %bb.506:
	v_bfe_u32 v58, v59, 23, 8
	v_and_b32_e32 v62, 0x7fffff, v59
	s_delay_alu instid0(VALU_DEP_2) | instskip(SKIP_1) | instid1(VALU_DEP_3)
	v_sub_nc_u32_e32 v63, 0x78, v58
	v_cmp_gt_u32_e32 vcc_lo, 0x79, v58
	v_or_b32_e32 v64, 0x800000, v62
	s_wait_alu 0xfffd
	s_delay_alu instid0(VALU_DEP_3)
	v_cndmask_b32_e32 v63, 0, v63, vcc_lo
	v_cmp_eq_u32_e32 vcc_lo, 0, v58
	v_add_nc_u32_e32 v58, 0xffffff89, v58
	s_wait_alu 0xfffd
	v_cndmask_b32_e32 v62, v64, v62, vcc_lo
	v_cndmask_b32_e64 v63, v63, 0x77, vcc_lo
	s_delay_alu instid0(VALU_DEP_3) | instskip(NEXT) | instid1(VALU_DEP_2)
	v_cndmask_b32_e64 v58, v58, 0xffffff8a, vcc_lo
	v_lshrrev_b32_e32 v65, v63, v62
	v_lshl_add_u32 v64, 0x100000, v63, -1
	v_lshlrev_b32_e64 v67, v63, 0x80000
	s_delay_alu instid0(VALU_DEP_4) | instskip(NEXT) | instid1(VALU_DEP_4)
	v_add_nc_u32_e32 v63, v63, v58
	v_bfe_u32 v66, v65, 20, 1
	s_delay_alu instid0(VALU_DEP_4) | instskip(NEXT) | instid1(VALU_DEP_2)
	v_and_b32_e32 v62, v64, v62
	v_add_nc_u32_e32 v64, -1, v66
	s_delay_alu instid0(VALU_DEP_2) | instskip(SKIP_1) | instid1(VALU_DEP_1)
	v_cmp_eq_u32_e64 s0, v62, v67
	s_wait_alu 0xf1ff
	v_cndmask_b32_e64 v62, 0, v64, s0
	v_lshrrev_b32_e32 v64, 23, v65
	s_mov_b32 s0, exec_lo
	s_delay_alu instid0(VALU_DEP_2) | instskip(NEXT) | instid1(VALU_DEP_2)
	v_add_nc_u32_e32 v62, v62, v65
	v_xor_b32_e32 v64, 1, v64
	s_delay_alu instid0(VALU_DEP_2) | instskip(NEXT) | instid1(VALU_DEP_1)
	v_and_b32_e32 v58, 0xfffff, v62
	v_add_nc_u32_e32 v62, v58, v65
                                        ; implicit-def: $vgpr58
	s_delay_alu instid0(VALU_DEP_3)
	v_cmpx_ne_u32_e64 v63, v64
	s_wait_alu 0xfffe
	s_xor_b32 s0, exec_lo, s0
; %bb.507:
	s_delay_alu instid0(VALU_DEP_2) | instskip(SKIP_3) | instid1(VALU_DEP_2)
	v_cmp_lt_u32_e32 vcc_lo, 0xffffff, v62
	v_sub_nc_u32_e32 v58, v63, v64
	s_wait_alu 0xfffd
	v_cndmask_b32_e64 v63, 0, 1, vcc_lo
	v_add_co_ci_u32_e64 v58, null, 0, v58, vcc_lo
	s_delay_alu instid0(VALU_DEP_2)
	v_lshrrev_b32_e32 v62, v63, v62
; %bb.508:
	s_wait_alu 0xfffe
	s_and_not1_saveexec_b32 s0, s0
; %bb.509:
	s_delay_alu instid0(VALU_DEP_1)
	v_bfe_u32 v58, v62, 23, 1
; %bb.510:
	s_wait_alu 0xfffe
	s_or_b32 exec_lo, exec_lo, s0
	v_lshrrev_b32_e32 v62, 20, v62
	s_delay_alu instid0(VALU_DEP_2) | instskip(SKIP_3) | instid1(VALU_DEP_2)
	v_cmp_gt_i32_e32 vcc_lo, 16, v58
	v_lshrrev_b32_e32 v59, 24, v59
	v_min_i32_e32 v63, 15, v58
	s_wait_alu 0xfffd
	v_dual_cndmask_b32 v62, 7, v62 :: v_dual_and_b32 v59, 0x80, v59
	s_delay_alu instid0(VALU_DEP_2) | instskip(NEXT) | instid1(VALU_DEP_2)
	v_lshlrev_b32_e32 v63, 3, v63
	v_and_b32_e32 v64, 7, v62
	v_or_b32_e32 v58, v58, v62
	s_delay_alu instid0(VALU_DEP_2) | instskip(NEXT) | instid1(VALU_DEP_2)
	v_or3_b32 v59, v59, v63, v64
	v_cmp_ne_u32_e32 vcc_lo, 0, v58
	s_delay_alu instid0(VALU_DEP_2) | instskip(SKIP_1) | instid1(VALU_DEP_1)
	v_lshlrev_b32_e32 v59, 24, v59
	s_wait_alu 0xfffd
	v_cndmask_b32_e32 v58, 0, v59, vcc_lo
.LBB4_511:
	s_wait_alu 0xfffe
	s_or_b32 exec_lo, exec_lo, s6
.LBB4_512:
	s_wait_alu 0xfffe
	s_or_b32 exec_lo, exec_lo, s3
	v_or_b32_e32 v56, v56, v61
	s_mov_b32 s6, s1
	s_delay_alu instid0(VALU_DEP_1)
	v_or3_b32 v56, v57, v56, v58
	buffer_store_b32 v56, v60, s[4:7], null offen offset:4
	s_wait_dscnt 0x0
	s_barrier_signal -1
	s_barrier_wait -1
	ds_store_2addr_stride64_b32 v93, v0, v1 offset1:1
	ds_store_2addr_stride64_b32 v93, v2, v3 offset0:2 offset1:3
	ds_store_2addr_stride64_b32 v93, v4, v5 offset0:4 offset1:5
	;; [unrolled: 1-line block ×3, first 2 shown]
	s_wait_dscnt 0x0
	s_barrier_signal -1
	s_barrier_wait -1
	ds_load_b128 v[0:3], v92
	s_wait_dscnt 0x0
	v_and_b32_e32 v4, 0x7f800000, v0
	s_delay_alu instid0(VALU_DEP_1)
	v_cmp_ne_u32_e32 vcc_lo, 0x7f800000, v4
	v_mov_b32_e32 v4, 0x80
	s_and_saveexec_b32 s3, vcc_lo
	s_cbranch_execz .LBB4_520
; %bb.513:
	v_mov_b32_e32 v4, 0
	s_mov_b32 s6, exec_lo
	v_cmpx_ne_u32_e32 0, v0
	s_cbranch_execz .LBB4_519
; %bb.514:
	v_bfe_u32 v4, v0, 23, 8
	s_delay_alu instid0(VALU_DEP_1) | instskip(SKIP_2) | instid1(VALU_DEP_2)
	v_sub_nc_u32_e32 v6, 0x78, v4
	v_cmp_gt_u32_e32 vcc_lo, 0x79, v4
	s_wait_alu 0xfffd
	v_dual_cndmask_b32 v6, 0, v6 :: v_dual_and_b32 v5, 0x7fffff, v0
	s_delay_alu instid0(VALU_DEP_1) | instskip(SKIP_2) | instid1(VALU_DEP_2)
	v_or_b32_e32 v7, 0x800000, v5
	v_cmp_eq_u32_e32 vcc_lo, 0, v4
	s_wait_alu 0xfffd
	v_dual_cndmask_b32 v5, v7, v5 :: v_dual_add_nc_u32 v4, 0xffffff89, v4
	v_cndmask_b32_e64 v6, v6, 0x77, vcc_lo
	s_delay_alu instid0(VALU_DEP_2) | instskip(NEXT) | instid1(VALU_DEP_2)
	v_cndmask_b32_e64 v4, v4, 0xffffff8a, vcc_lo
	v_lshrrev_b32_e32 v56, v6, v5
	v_lshl_add_u32 v7, 0x100000, v6, -1
	v_lshlrev_b32_e64 v58, v6, 0x80000
	s_delay_alu instid0(VALU_DEP_4) | instskip(NEXT) | instid1(VALU_DEP_4)
	v_add_nc_u32_e32 v6, v6, v4
	v_bfe_u32 v57, v56, 20, 1
	s_delay_alu instid0(VALU_DEP_4) | instskip(NEXT) | instid1(VALU_DEP_2)
	v_and_b32_e32 v5, v7, v5
	v_add_nc_u32_e32 v7, -1, v57
	s_delay_alu instid0(VALU_DEP_2) | instskip(SKIP_1) | instid1(VALU_DEP_1)
	v_cmp_eq_u32_e64 s0, v5, v58
	s_wait_alu 0xf1ff
	v_cndmask_b32_e64 v5, 0, v7, s0
	v_lshrrev_b32_e32 v7, 23, v56
	s_mov_b32 s0, exec_lo
	s_delay_alu instid0(VALU_DEP_2) | instskip(NEXT) | instid1(VALU_DEP_2)
	v_add_nc_u32_e32 v5, v5, v56
	v_xor_b32_e32 v7, 1, v7
	s_delay_alu instid0(VALU_DEP_2) | instskip(NEXT) | instid1(VALU_DEP_1)
	v_and_b32_e32 v4, 0xfffff, v5
	v_add_nc_u32_e32 v5, v4, v56
                                        ; implicit-def: $vgpr4
	s_delay_alu instid0(VALU_DEP_3)
	v_cmpx_ne_u32_e64 v6, v7
	s_wait_alu 0xfffe
	s_xor_b32 s0, exec_lo, s0
; %bb.515:
	s_delay_alu instid0(VALU_DEP_2) | instskip(SKIP_3) | instid1(VALU_DEP_2)
	v_cmp_lt_u32_e32 vcc_lo, 0xffffff, v5
	v_sub_nc_u32_e32 v4, v6, v7
	s_wait_alu 0xfffd
	v_cndmask_b32_e64 v6, 0, 1, vcc_lo
	v_add_co_ci_u32_e64 v4, null, 0, v4, vcc_lo
	s_delay_alu instid0(VALU_DEP_2)
	v_lshrrev_b32_e32 v5, v6, v5
; %bb.516:
	s_wait_alu 0xfffe
	s_and_not1_saveexec_b32 s0, s0
; %bb.517:
	s_delay_alu instid0(VALU_DEP_1)
	v_bfe_u32 v4, v5, 23, 1
; %bb.518:
	s_wait_alu 0xfffe
	s_or_b32 exec_lo, exec_lo, s0
	v_lshrrev_b32_e32 v5, 20, v5
	s_delay_alu instid0(VALU_DEP_2) | instskip(SKIP_3) | instid1(VALU_DEP_2)
	v_cmp_gt_i32_e32 vcc_lo, 16, v4
	v_min_i32_e32 v6, 15, v4
	v_lshrrev_b32_e32 v0, 24, v0
	s_wait_alu 0xfffd
	v_dual_cndmask_b32 v5, 7, v5 :: v_dual_lshlrev_b32 v6, 3, v6
	s_delay_alu instid0(VALU_DEP_2) | instskip(NEXT) | instid1(VALU_DEP_2)
	v_and_b32_e32 v0, 0x80, v0
	v_or_b32_e32 v4, v4, v5
	s_delay_alu instid0(VALU_DEP_3) | instskip(NEXT) | instid1(VALU_DEP_2)
	v_and_b32_e32 v6, 0xf8, v6
	v_cmp_ne_u32_e32 vcc_lo, 0, v4
	v_and_b32_e32 v7, 7, v5
	s_delay_alu instid0(VALU_DEP_1) | instskip(SKIP_1) | instid1(VALU_DEP_1)
	v_or3_b32 v0, v6, v0, v7
	s_wait_alu 0xfffd
	v_cndmask_b32_e32 v4, 0, v0, vcc_lo
.LBB4_519:
	s_wait_alu 0xfffe
	s_or_b32 exec_lo, exec_lo, s6
.LBB4_520:
	s_wait_alu 0xfffe
	s_or_b32 exec_lo, exec_lo, s3
	v_and_b32_e32 v0, 0x7f800000, v1
	s_delay_alu instid0(VALU_DEP_1)
	v_cmp_ne_u32_e32 vcc_lo, 0x7f800000, v0
	v_mov_b32_e32 v0, 0x8000
	s_and_saveexec_b32 s3, vcc_lo
	s_cbranch_execz .LBB4_528
; %bb.521:
	v_mov_b32_e32 v0, 0
	s_mov_b32 s6, exec_lo
	v_cmpx_ne_u32_e32 0, v1
	s_cbranch_execz .LBB4_527
; %bb.522:
	v_bfe_u32 v0, v1, 23, 8
	s_delay_alu instid0(VALU_DEP_1) | instskip(SKIP_2) | instid1(VALU_DEP_2)
	v_sub_nc_u32_e32 v6, 0x78, v0
	v_cmp_gt_u32_e32 vcc_lo, 0x79, v0
	s_wait_alu 0xfffd
	v_dual_cndmask_b32 v6, 0, v6 :: v_dual_and_b32 v5, 0x7fffff, v1
	s_delay_alu instid0(VALU_DEP_1) | instskip(SKIP_2) | instid1(VALU_DEP_2)
	v_or_b32_e32 v7, 0x800000, v5
	v_cmp_eq_u32_e32 vcc_lo, 0, v0
	s_wait_alu 0xfffd
	v_dual_cndmask_b32 v5, v7, v5 :: v_dual_add_nc_u32 v0, 0xffffff89, v0
	v_cndmask_b32_e64 v6, v6, 0x77, vcc_lo
	s_delay_alu instid0(VALU_DEP_2) | instskip(NEXT) | instid1(VALU_DEP_2)
	v_cndmask_b32_e64 v0, v0, 0xffffff8a, vcc_lo
	v_lshrrev_b32_e32 v56, v6, v5
	v_lshl_add_u32 v7, 0x100000, v6, -1
	v_lshlrev_b32_e64 v58, v6, 0x80000
	s_delay_alu instid0(VALU_DEP_4) | instskip(NEXT) | instid1(VALU_DEP_4)
	v_add_nc_u32_e32 v6, v6, v0
	v_bfe_u32 v57, v56, 20, 1
	s_delay_alu instid0(VALU_DEP_4) | instskip(NEXT) | instid1(VALU_DEP_2)
	v_and_b32_e32 v5, v7, v5
	v_add_nc_u32_e32 v7, -1, v57
	s_delay_alu instid0(VALU_DEP_2) | instskip(SKIP_1) | instid1(VALU_DEP_1)
	v_cmp_eq_u32_e64 s0, v5, v58
	s_wait_alu 0xf1ff
	v_cndmask_b32_e64 v5, 0, v7, s0
	v_lshrrev_b32_e32 v7, 23, v56
	s_mov_b32 s0, exec_lo
	s_delay_alu instid0(VALU_DEP_2) | instskip(NEXT) | instid1(VALU_DEP_2)
	v_add_nc_u32_e32 v5, v5, v56
	v_xor_b32_e32 v7, 1, v7
	s_delay_alu instid0(VALU_DEP_2) | instskip(NEXT) | instid1(VALU_DEP_1)
	v_and_b32_e32 v0, 0xfffff, v5
	v_add_nc_u32_e32 v5, v0, v56
                                        ; implicit-def: $vgpr0
	s_delay_alu instid0(VALU_DEP_3)
	v_cmpx_ne_u32_e64 v6, v7
	s_wait_alu 0xfffe
	s_xor_b32 s0, exec_lo, s0
; %bb.523:
	s_delay_alu instid0(VALU_DEP_2) | instskip(SKIP_3) | instid1(VALU_DEP_2)
	v_cmp_lt_u32_e32 vcc_lo, 0xffffff, v5
	v_sub_nc_u32_e32 v0, v6, v7
	s_wait_alu 0xfffd
	v_cndmask_b32_e64 v6, 0, 1, vcc_lo
	v_add_co_ci_u32_e64 v0, null, 0, v0, vcc_lo
	s_delay_alu instid0(VALU_DEP_2)
	v_lshrrev_b32_e32 v5, v6, v5
; %bb.524:
	s_wait_alu 0xfffe
	s_and_not1_saveexec_b32 s0, s0
; %bb.525:
	s_delay_alu instid0(VALU_DEP_1)
	v_bfe_u32 v0, v5, 23, 1
; %bb.526:
	s_wait_alu 0xfffe
	s_or_b32 exec_lo, exec_lo, s0
	v_lshrrev_b32_e32 v5, 20, v5
	s_delay_alu instid0(VALU_DEP_2) | instskip(SKIP_3) | instid1(VALU_DEP_3)
	v_min_i32_e32 v6, 15, v0
	v_cmp_gt_i32_e32 vcc_lo, 16, v0
	v_lshrrev_b32_e32 v1, 24, v1
	s_wait_alu 0xfffd
	v_dual_cndmask_b32 v5, 7, v5 :: v_dual_lshlrev_b32 v6, 3, v6
	s_delay_alu instid0(VALU_DEP_2) | instskip(NEXT) | instid1(VALU_DEP_2)
	v_and_b32_e32 v1, 0x80, v1
	v_and_b32_e32 v6, 0xf8, v6
	s_delay_alu instid0(VALU_DEP_3) | instskip(SKIP_1) | instid1(VALU_DEP_2)
	v_and_b32_e32 v7, 7, v5
	v_or_b32_e32 v0, v0, v5
	v_or3_b32 v1, v1, v6, v7
	s_delay_alu instid0(VALU_DEP_2) | instskip(NEXT) | instid1(VALU_DEP_2)
	v_cmp_ne_u32_e32 vcc_lo, 0, v0
	v_lshlrev_b32_e32 v1, 8, v1
	s_wait_alu 0xfffd
	s_delay_alu instid0(VALU_DEP_1)
	v_cndmask_b32_e32 v0, 0, v1, vcc_lo
.LBB4_527:
	s_wait_alu 0xfffe
	s_or_b32 exec_lo, exec_lo, s6
.LBB4_528:
	s_wait_alu 0xfffe
	s_or_b32 exec_lo, exec_lo, s3
	v_and_b32_e32 v1, 0x7f800000, v2
	v_mov_b32_e32 v61, 0x800000
	s_mov_b32 s3, exec_lo
	s_delay_alu instid0(VALU_DEP_2)
	v_cmpx_ne_u32_e32 0x7f800000, v1
	s_cbranch_execz .LBB4_536
; %bb.529:
	v_mov_b32_e32 v61, 0
	s_mov_b32 s6, exec_lo
	v_cmpx_ne_u32_e32 0, v2
	s_cbranch_execz .LBB4_535
; %bb.530:
	v_bfe_u32 v1, v2, 23, 8
	v_and_b32_e32 v5, 0x7fffff, v2
	s_delay_alu instid0(VALU_DEP_2) | instskip(SKIP_1) | instid1(VALU_DEP_3)
	v_sub_nc_u32_e32 v6, 0x78, v1
	v_cmp_gt_u32_e32 vcc_lo, 0x79, v1
	v_or_b32_e32 v7, 0x800000, v5
	s_wait_alu 0xfffd
	s_delay_alu instid0(VALU_DEP_3)
	v_cndmask_b32_e32 v6, 0, v6, vcc_lo
	v_cmp_eq_u32_e32 vcc_lo, 0, v1
	v_add_nc_u32_e32 v1, 0xffffff89, v1
	s_wait_alu 0xfffd
	v_cndmask_b32_e32 v5, v7, v5, vcc_lo
	v_cndmask_b32_e64 v6, v6, 0x77, vcc_lo
	s_delay_alu instid0(VALU_DEP_3) | instskip(NEXT) | instid1(VALU_DEP_2)
	v_cndmask_b32_e64 v1, v1, 0xffffff8a, vcc_lo
	v_lshrrev_b32_e32 v56, v6, v5
	v_lshl_add_u32 v7, 0x100000, v6, -1
	v_lshlrev_b32_e64 v58, v6, 0x80000
	s_delay_alu instid0(VALU_DEP_4) | instskip(NEXT) | instid1(VALU_DEP_4)
	v_add_nc_u32_e32 v6, v6, v1
	v_bfe_u32 v57, v56, 20, 1
	s_delay_alu instid0(VALU_DEP_4) | instskip(NEXT) | instid1(VALU_DEP_2)
	v_and_b32_e32 v5, v7, v5
	v_add_nc_u32_e32 v7, -1, v57
	s_delay_alu instid0(VALU_DEP_2) | instskip(SKIP_1) | instid1(VALU_DEP_1)
	v_cmp_eq_u32_e64 s0, v5, v58
	s_wait_alu 0xf1ff
	v_cndmask_b32_e64 v5, 0, v7, s0
	v_lshrrev_b32_e32 v7, 23, v56
	s_mov_b32 s0, exec_lo
	s_delay_alu instid0(VALU_DEP_2) | instskip(NEXT) | instid1(VALU_DEP_2)
	v_add_nc_u32_e32 v5, v5, v56
	v_xor_b32_e32 v7, 1, v7
	s_delay_alu instid0(VALU_DEP_2) | instskip(NEXT) | instid1(VALU_DEP_1)
	v_and_b32_e32 v1, 0xfffff, v5
	v_add_nc_u32_e32 v5, v1, v56
                                        ; implicit-def: $vgpr1
	s_delay_alu instid0(VALU_DEP_3)
	v_cmpx_ne_u32_e64 v6, v7
	s_wait_alu 0xfffe
	s_xor_b32 s0, exec_lo, s0
; %bb.531:
	s_delay_alu instid0(VALU_DEP_2) | instskip(SKIP_3) | instid1(VALU_DEP_2)
	v_cmp_lt_u32_e32 vcc_lo, 0xffffff, v5
	v_sub_nc_u32_e32 v1, v6, v7
	s_wait_alu 0xfffd
	v_cndmask_b32_e64 v6, 0, 1, vcc_lo
	v_add_co_ci_u32_e64 v1, null, 0, v1, vcc_lo
	s_delay_alu instid0(VALU_DEP_2)
	v_lshrrev_b32_e32 v5, v6, v5
; %bb.532:
	s_wait_alu 0xfffe
	s_and_not1_saveexec_b32 s0, s0
; %bb.533:
	s_delay_alu instid0(VALU_DEP_1)
	v_bfe_u32 v1, v5, 23, 1
; %bb.534:
	s_wait_alu 0xfffe
	s_or_b32 exec_lo, exec_lo, s0
	v_lshrrev_b32_e32 v5, 20, v5
	s_delay_alu instid0(VALU_DEP_2) | instskip(SKIP_3) | instid1(VALU_DEP_3)
	v_min_i32_e32 v6, 15, v1
	v_cmp_gt_i32_e32 vcc_lo, 16, v1
	v_lshrrev_b32_e32 v2, 24, v2
	s_wait_alu 0xfffd
	v_dual_cndmask_b32 v5, 7, v5 :: v_dual_lshlrev_b32 v6, 3, v6
	s_delay_alu instid0(VALU_DEP_2) | instskip(NEXT) | instid1(VALU_DEP_2)
	v_and_b32_e32 v2, 0x80, v2
	v_and_b32_e32 v6, 0xf8, v6
	s_delay_alu instid0(VALU_DEP_3) | instskip(SKIP_1) | instid1(VALU_DEP_2)
	v_and_b32_e32 v7, 7, v5
	v_or_b32_e32 v1, v1, v5
	v_or3_b32 v2, v2, v6, v7
	s_delay_alu instid0(VALU_DEP_2) | instskip(NEXT) | instid1(VALU_DEP_2)
	v_cmp_ne_u32_e32 vcc_lo, 0, v1
	v_lshlrev_b32_e32 v2, 16, v2
	s_wait_alu 0xfffd
	s_delay_alu instid0(VALU_DEP_1)
	v_cndmask_b32_e32 v61, 0, v2, vcc_lo
.LBB4_535:
	s_wait_alu 0xfffe
	s_or_b32 exec_lo, exec_lo, s6
.LBB4_536:
	s_wait_alu 0xfffe
	s_or_b32 exec_lo, exec_lo, s3
	v_and_b32_e32 v1, 0x7f800000, v3
	v_bfrev_b32_e32 v62, 1
	s_mov_b32 s3, exec_lo
	s_delay_alu instid0(VALU_DEP_2)
	v_cmpx_ne_u32_e32 0x7f800000, v1
	s_cbranch_execz .LBB4_544
; %bb.537:
	v_mov_b32_e32 v62, 0
	s_mov_b32 s6, exec_lo
	v_cmpx_ne_u32_e32 0, v3
	s_cbranch_execz .LBB4_543
; %bb.538:
	v_bfe_u32 v1, v3, 23, 8
	s_delay_alu instid0(VALU_DEP_1) | instskip(SKIP_2) | instid1(VALU_DEP_2)
	v_sub_nc_u32_e32 v5, 0x78, v1
	v_cmp_gt_u32_e32 vcc_lo, 0x79, v1
	s_wait_alu 0xfffd
	v_dual_cndmask_b32 v5, 0, v5 :: v_dual_and_b32 v2, 0x7fffff, v3
	s_delay_alu instid0(VALU_DEP_1) | instskip(SKIP_2) | instid1(VALU_DEP_2)
	v_or_b32_e32 v6, 0x800000, v2
	v_cmp_eq_u32_e32 vcc_lo, 0, v1
	s_wait_alu 0xfffd
	v_dual_cndmask_b32 v2, v6, v2 :: v_dual_add_nc_u32 v1, 0xffffff89, v1
	v_cndmask_b32_e64 v5, v5, 0x77, vcc_lo
	s_delay_alu instid0(VALU_DEP_2) | instskip(NEXT) | instid1(VALU_DEP_2)
	v_cndmask_b32_e64 v1, v1, 0xffffff8a, vcc_lo
	v_lshrrev_b32_e32 v7, v5, v2
	v_lshl_add_u32 v6, 0x100000, v5, -1
	v_lshlrev_b32_e64 v57, v5, 0x80000
	s_delay_alu instid0(VALU_DEP_4) | instskip(NEXT) | instid1(VALU_DEP_4)
	v_add_nc_u32_e32 v5, v5, v1
	v_bfe_u32 v56, v7, 20, 1
	s_delay_alu instid0(VALU_DEP_4) | instskip(NEXT) | instid1(VALU_DEP_2)
	v_and_b32_e32 v2, v6, v2
	v_add_nc_u32_e32 v6, -1, v56
	s_delay_alu instid0(VALU_DEP_2) | instskip(SKIP_1) | instid1(VALU_DEP_1)
	v_cmp_eq_u32_e64 s0, v2, v57
	s_wait_alu 0xf1ff
	v_cndmask_b32_e64 v2, 0, v6, s0
	v_lshrrev_b32_e32 v6, 23, v7
	s_mov_b32 s0, exec_lo
	s_delay_alu instid0(VALU_DEP_2) | instskip(NEXT) | instid1(VALU_DEP_2)
	v_add_nc_u32_e32 v2, v2, v7
	v_xor_b32_e32 v6, 1, v6
	s_delay_alu instid0(VALU_DEP_2) | instskip(NEXT) | instid1(VALU_DEP_1)
	v_and_b32_e32 v1, 0xfffff, v2
	v_add_nc_u32_e32 v2, v1, v7
                                        ; implicit-def: $vgpr1
	s_delay_alu instid0(VALU_DEP_3)
	v_cmpx_ne_u32_e64 v5, v6
	s_wait_alu 0xfffe
	s_xor_b32 s0, exec_lo, s0
; %bb.539:
	s_delay_alu instid0(VALU_DEP_2) | instskip(SKIP_3) | instid1(VALU_DEP_2)
	v_cmp_lt_u32_e32 vcc_lo, 0xffffff, v2
	v_sub_nc_u32_e32 v1, v5, v6
	s_wait_alu 0xfffd
	v_cndmask_b32_e64 v5, 0, 1, vcc_lo
	v_add_co_ci_u32_e64 v1, null, 0, v1, vcc_lo
	s_delay_alu instid0(VALU_DEP_2)
	v_lshrrev_b32_e32 v2, v5, v2
; %bb.540:
	s_wait_alu 0xfffe
	s_and_not1_saveexec_b32 s0, s0
; %bb.541:
	s_delay_alu instid0(VALU_DEP_1)
	v_bfe_u32 v1, v2, 23, 1
; %bb.542:
	s_wait_alu 0xfffe
	s_or_b32 exec_lo, exec_lo, s0
	v_lshrrev_b32_e32 v2, 20, v2
	s_delay_alu instid0(VALU_DEP_2) | instskip(SKIP_3) | instid1(VALU_DEP_2)
	v_cmp_gt_i32_e32 vcc_lo, 16, v1
	v_lshrrev_b32_e32 v3, 24, v3
	v_min_i32_e32 v5, 15, v1
	s_wait_alu 0xfffd
	v_dual_cndmask_b32 v2, 7, v2 :: v_dual_and_b32 v3, 0x80, v3
	s_delay_alu instid0(VALU_DEP_1) | instskip(SKIP_1) | instid1(VALU_DEP_2)
	v_or_b32_e32 v1, v1, v2
	v_and_b32_e32 v6, 7, v2
	v_cmp_ne_u32_e32 vcc_lo, 0, v1
	v_lshlrev_b32_e32 v5, 3, v5
	s_delay_alu instid0(VALU_DEP_1) | instskip(NEXT) | instid1(VALU_DEP_1)
	v_or3_b32 v3, v3, v5, v6
	v_lshlrev_b32_e32 v2, 24, v3
	s_wait_alu 0xfffd
	s_delay_alu instid0(VALU_DEP_1)
	v_cndmask_b32_e32 v62, 0, v2, vcc_lo
.LBB4_543:
	s_wait_alu 0xfffe
	s_or_b32 exec_lo, exec_lo, s6
.LBB4_544:
	s_wait_alu 0xfffe
	s_or_b32 exec_lo, exec_lo, s3
	ds_load_b128 v[56:59], v92 offset:16
	v_or_b32_e32 v63, v0, v4
	v_wmma_f32_16x16x16_fp8_fp8 v[0:7], v[52:53], v[28:29], 0
	v_dual_mov_b32 v53, 0x80 :: v_dual_add_nc_u32 v52, s2, v60
	s_delay_alu instid0(VALU_DEP_3)
	v_or3_b32 v60, v61, v63, v62
	s_mov_b32 s6, s1
	s_mov_b32 s3, exec_lo
	buffer_store_b32 v60, v52, s[4:7], null offen
	s_wait_dscnt 0x0
	v_and_b32_e32 v64, 0x7f800000, v56
	s_delay_alu instid0(VALU_DEP_1)
	v_cmpx_ne_u32_e32 0x7f800000, v64
	s_cbranch_execz .LBB4_552
; %bb.545:
	v_mov_b32_e32 v53, 0
	s_mov_b32 s6, exec_lo
	v_cmpx_ne_u32_e32 0, v56
	s_cbranch_execz .LBB4_551
; %bb.546:
	v_bfe_u32 v53, v56, 23, 8
	s_delay_alu instid0(VALU_DEP_1) | instskip(SKIP_2) | instid1(VALU_DEP_2)
	v_sub_nc_u32_e32 v61, 0x78, v53
	v_cmp_gt_u32_e32 vcc_lo, 0x79, v53
	s_wait_alu 0xfffd
	v_dual_cndmask_b32 v61, 0, v61 :: v_dual_and_b32 v60, 0x7fffff, v56
	s_delay_alu instid0(VALU_DEP_1) | instskip(SKIP_2) | instid1(VALU_DEP_2)
	v_or_b32_e32 v62, 0x800000, v60
	v_cmp_eq_u32_e32 vcc_lo, 0, v53
	s_wait_alu 0xfffd
	v_dual_cndmask_b32 v60, v62, v60 :: v_dual_add_nc_u32 v53, 0xffffff89, v53
	v_cndmask_b32_e64 v61, v61, 0x77, vcc_lo
	s_delay_alu instid0(VALU_DEP_2) | instskip(NEXT) | instid1(VALU_DEP_2)
	v_cndmask_b32_e64 v53, v53, 0xffffff8a, vcc_lo
	v_lshrrev_b32_e32 v63, v61, v60
	v_lshl_add_u32 v62, 0x100000, v61, -1
	v_lshlrev_b32_e64 v65, v61, 0x80000
	s_delay_alu instid0(VALU_DEP_4) | instskip(NEXT) | instid1(VALU_DEP_4)
	v_add_nc_u32_e32 v61, v61, v53
	v_bfe_u32 v64, v63, 20, 1
	s_delay_alu instid0(VALU_DEP_4) | instskip(NEXT) | instid1(VALU_DEP_2)
	v_and_b32_e32 v60, v62, v60
	v_add_nc_u32_e32 v62, -1, v64
	s_delay_alu instid0(VALU_DEP_2) | instskip(SKIP_1) | instid1(VALU_DEP_1)
	v_cmp_eq_u32_e64 s0, v60, v65
	s_wait_alu 0xf1ff
	v_cndmask_b32_e64 v60, 0, v62, s0
	v_lshrrev_b32_e32 v62, 23, v63
	s_mov_b32 s0, exec_lo
	s_delay_alu instid0(VALU_DEP_2) | instskip(NEXT) | instid1(VALU_DEP_2)
	v_add_nc_u32_e32 v60, v60, v63
	v_xor_b32_e32 v62, 1, v62
	s_delay_alu instid0(VALU_DEP_2) | instskip(NEXT) | instid1(VALU_DEP_1)
	v_and_b32_e32 v53, 0xfffff, v60
	v_add_nc_u32_e32 v60, v53, v63
                                        ; implicit-def: $vgpr53
	s_delay_alu instid0(VALU_DEP_3)
	v_cmpx_ne_u32_e64 v61, v62
	s_wait_alu 0xfffe
	s_xor_b32 s0, exec_lo, s0
; %bb.547:
	s_delay_alu instid0(VALU_DEP_2) | instskip(SKIP_3) | instid1(VALU_DEP_2)
	v_cmp_lt_u32_e32 vcc_lo, 0xffffff, v60
	v_sub_nc_u32_e32 v53, v61, v62
	s_wait_alu 0xfffd
	v_cndmask_b32_e64 v61, 0, 1, vcc_lo
	v_add_co_ci_u32_e64 v53, null, 0, v53, vcc_lo
	s_delay_alu instid0(VALU_DEP_2)
	v_lshrrev_b32_e32 v60, v61, v60
; %bb.548:
	s_wait_alu 0xfffe
	s_and_not1_saveexec_b32 s0, s0
; %bb.549:
	s_delay_alu instid0(VALU_DEP_1)
	v_bfe_u32 v53, v60, 23, 1
; %bb.550:
	s_wait_alu 0xfffe
	s_or_b32 exec_lo, exec_lo, s0
	v_lshrrev_b32_e32 v60, 20, v60
	s_delay_alu instid0(VALU_DEP_2) | instskip(SKIP_3) | instid1(VALU_DEP_3)
	v_min_i32_e32 v61, 15, v53
	v_cmp_gt_i32_e32 vcc_lo, 16, v53
	v_lshrrev_b32_e32 v56, 24, v56
	s_wait_alu 0xfffd
	v_dual_cndmask_b32 v60, 7, v60 :: v_dual_lshlrev_b32 v61, 3, v61
	s_delay_alu instid0(VALU_DEP_2) | instskip(NEXT) | instid1(VALU_DEP_2)
	v_and_b32_e32 v56, 0x80, v56
	v_and_b32_e32 v61, 0xf8, v61
	s_delay_alu instid0(VALU_DEP_3) | instskip(SKIP_1) | instid1(VALU_DEP_2)
	v_and_b32_e32 v62, 7, v60
	v_or_b32_e32 v53, v53, v60
	v_or3_b32 v56, v61, v56, v62
	s_delay_alu instid0(VALU_DEP_2) | instskip(SKIP_1) | instid1(VALU_DEP_2)
	v_cmp_ne_u32_e32 vcc_lo, 0, v53
	s_wait_alu 0xfffd
	v_cndmask_b32_e32 v53, 0, v56, vcc_lo
.LBB4_551:
	s_wait_alu 0xfffe
	s_or_b32 exec_lo, exec_lo, s6
.LBB4_552:
	s_delay_alu instid0(SALU_CYCLE_1) | instskip(SKIP_4) | instid1(VALU_DEP_3)
	s_or_b32 exec_lo, exec_lo, s3
	v_and_b32_e32 v56, 0x7f800000, v57
	v_wmma_f32_16x16x16_fp8_fp8 v[0:7], v[54:55], v[30:31], v[0:7]
	v_mov_b32_e32 v54, 0x8000
	s_mov_b32 s3, exec_lo
	v_cmpx_ne_u32_e32 0x7f800000, v56
	s_cbranch_execz .LBB4_560
; %bb.553:
	v_mov_b32_e32 v54, 0
	s_mov_b32 s6, exec_lo
	v_cmpx_ne_u32_e32 0, v57
	s_cbranch_execz .LBB4_559
; %bb.554:
	v_bfe_u32 v54, v57, 23, 8
	s_delay_alu instid0(VALU_DEP_1) | instskip(SKIP_2) | instid1(VALU_DEP_2)
	v_sub_nc_u32_e32 v56, 0x78, v54
	v_cmp_gt_u32_e32 vcc_lo, 0x79, v54
	s_wait_alu 0xfffd
	v_dual_cndmask_b32 v56, 0, v56 :: v_dual_and_b32 v55, 0x7fffff, v57
	s_delay_alu instid0(VALU_DEP_1)
	v_or_b32_e32 v60, 0x800000, v55
	v_cmp_eq_u32_e32 vcc_lo, 0, v54
	v_add_nc_u32_e32 v54, 0xffffff89, v54
	s_wait_alu 0xfffd
	v_cndmask_b32_e64 v56, v56, 0x77, vcc_lo
	v_cndmask_b32_e32 v55, v60, v55, vcc_lo
	s_delay_alu instid0(VALU_DEP_3) | instskip(NEXT) | instid1(VALU_DEP_3)
	v_cndmask_b32_e64 v54, v54, 0xffffff8a, vcc_lo
	v_lshl_add_u32 v60, 0x100000, v56, -1
	s_delay_alu instid0(VALU_DEP_3) | instskip(SKIP_1) | instid1(VALU_DEP_4)
	v_lshrrev_b32_e32 v61, v56, v55
	v_lshlrev_b32_e64 v63, v56, 0x80000
	v_add_nc_u32_e32 v56, v56, v54
	s_delay_alu instid0(VALU_DEP_4) | instskip(NEXT) | instid1(VALU_DEP_4)
	v_and_b32_e32 v55, v60, v55
	v_bfe_u32 v62, v61, 20, 1
	s_delay_alu instid0(VALU_DEP_2) | instskip(NEXT) | instid1(VALU_DEP_2)
	v_cmp_eq_u32_e64 s0, v55, v63
	v_add_nc_u32_e32 v60, -1, v62
	s_wait_alu 0xf1ff
	s_delay_alu instid0(VALU_DEP_1) | instskip(SKIP_2) | instid1(VALU_DEP_2)
	v_cndmask_b32_e64 v55, 0, v60, s0
	v_lshrrev_b32_e32 v60, 23, v61
	s_mov_b32 s0, exec_lo
	v_add_nc_u32_e32 v55, v55, v61
	s_delay_alu instid0(VALU_DEP_2) | instskip(NEXT) | instid1(VALU_DEP_2)
	v_xor_b32_e32 v60, 1, v60
	v_and_b32_e32 v54, 0xfffff, v55
	s_delay_alu instid0(VALU_DEP_1) | instskip(NEXT) | instid1(VALU_DEP_3)
	v_add_nc_u32_e32 v55, v54, v61
                                        ; implicit-def: $vgpr54
	v_cmpx_ne_u32_e64 v56, v60
	s_wait_alu 0xfffe
	s_xor_b32 s0, exec_lo, s0
; %bb.555:
	s_delay_alu instid0(VALU_DEP_2) | instskip(SKIP_3) | instid1(VALU_DEP_2)
	v_cmp_lt_u32_e32 vcc_lo, 0xffffff, v55
	v_sub_nc_u32_e32 v54, v56, v60
	s_wait_alu 0xfffd
	v_cndmask_b32_e64 v56, 0, 1, vcc_lo
	v_add_co_ci_u32_e64 v54, null, 0, v54, vcc_lo
	s_delay_alu instid0(VALU_DEP_2)
	v_lshrrev_b32_e32 v55, v56, v55
; %bb.556:
	s_wait_alu 0xfffe
	s_and_not1_saveexec_b32 s0, s0
; %bb.557:
	s_delay_alu instid0(VALU_DEP_1)
	v_bfe_u32 v54, v55, 23, 1
; %bb.558:
	s_wait_alu 0xfffe
	s_or_b32 exec_lo, exec_lo, s0
	v_lshrrev_b32_e32 v55, 20, v55
	s_delay_alu instid0(VALU_DEP_2) | instskip(SKIP_3) | instid1(VALU_DEP_2)
	v_cmp_gt_i32_e32 vcc_lo, 16, v54
	v_min_i32_e32 v56, 15, v54
	v_lshrrev_b32_e32 v57, 24, v57
	s_wait_alu 0xfffd
	v_dual_cndmask_b32 v55, 7, v55 :: v_dual_lshlrev_b32 v56, 3, v56
	s_delay_alu instid0(VALU_DEP_1) | instskip(SKIP_1) | instid1(VALU_DEP_3)
	v_or_b32_e32 v54, v54, v55
	v_and_b32_e32 v60, 7, v55
	v_and_b32_e32 v56, 0xf8, v56
	s_delay_alu instid0(VALU_DEP_3) | instskip(SKIP_1) | instid1(VALU_DEP_1)
	v_cmp_ne_u32_e32 vcc_lo, 0, v54
	v_and_b32_e32 v57, 0x80, v57
	v_or3_b32 v56, v57, v56, v60
	s_delay_alu instid0(VALU_DEP_1) | instskip(SKIP_1) | instid1(VALU_DEP_1)
	v_lshlrev_b32_e32 v55, 8, v56
	s_wait_alu 0xfffd
	v_cndmask_b32_e32 v54, 0, v55, vcc_lo
.LBB4_559:
	s_wait_alu 0xfffe
	s_or_b32 exec_lo, exec_lo, s6
.LBB4_560:
	s_wait_alu 0xfffe
	s_or_b32 exec_lo, exec_lo, s3
	v_and_b32_e32 v55, 0x7f800000, v58
	v_wmma_f32_16x16x16_fp8_fp8 v[0:7], v[48:49], v[24:25], v[0:7]
	v_mov_b32_e32 v48, 0x800000
	s_mov_b32 s3, exec_lo
	s_delay_alu instid0(VALU_DEP_3)
	v_cmpx_ne_u32_e32 0x7f800000, v55
	s_cbranch_execz .LBB4_568
; %bb.561:
	v_mov_b32_e32 v48, 0
	s_mov_b32 s6, exec_lo
	v_cmpx_ne_u32_e32 0, v58
	s_cbranch_execz .LBB4_567
; %bb.562:
	v_bfe_u32 v48, v58, 23, 8
	v_and_b32_e32 v49, 0x7fffff, v58
	s_delay_alu instid0(VALU_DEP_2) | instskip(SKIP_1) | instid1(VALU_DEP_3)
	v_sub_nc_u32_e32 v55, 0x78, v48
	v_cmp_gt_u32_e32 vcc_lo, 0x79, v48
	v_or_b32_e32 v56, 0x800000, v49
	s_wait_alu 0xfffd
	s_delay_alu instid0(VALU_DEP_3) | instskip(SKIP_3) | instid1(VALU_DEP_3)
	v_cndmask_b32_e32 v55, 0, v55, vcc_lo
	v_cmp_eq_u32_e32 vcc_lo, 0, v48
	s_wait_alu 0xfffd
	v_dual_cndmask_b32 v49, v56, v49 :: v_dual_add_nc_u32 v48, 0xffffff89, v48
	v_cndmask_b32_e64 v55, v55, 0x77, vcc_lo
	s_delay_alu instid0(VALU_DEP_2) | instskip(NEXT) | instid1(VALU_DEP_2)
	v_cndmask_b32_e64 v48, v48, 0xffffff8a, vcc_lo
	v_lshrrev_b32_e32 v57, v55, v49
	v_lshl_add_u32 v56, 0x100000, v55, -1
	v_lshlrev_b32_e64 v61, v55, 0x80000
	s_delay_alu instid0(VALU_DEP_4) | instskip(NEXT) | instid1(VALU_DEP_4)
	v_add_nc_u32_e32 v55, v55, v48
	v_bfe_u32 v60, v57, 20, 1
	s_delay_alu instid0(VALU_DEP_4) | instskip(NEXT) | instid1(VALU_DEP_2)
	v_and_b32_e32 v49, v56, v49
	v_add_nc_u32_e32 v56, -1, v60
	s_delay_alu instid0(VALU_DEP_2) | instskip(SKIP_1) | instid1(VALU_DEP_1)
	v_cmp_eq_u32_e64 s0, v49, v61
	s_wait_alu 0xf1ff
	v_cndmask_b32_e64 v49, 0, v56, s0
	v_lshrrev_b32_e32 v56, 23, v57
	s_mov_b32 s0, exec_lo
	s_delay_alu instid0(VALU_DEP_2) | instskip(NEXT) | instid1(VALU_DEP_2)
	v_add_nc_u32_e32 v49, v49, v57
	v_xor_b32_e32 v56, 1, v56
	s_delay_alu instid0(VALU_DEP_2) | instskip(NEXT) | instid1(VALU_DEP_1)
	v_and_b32_e32 v48, 0xfffff, v49
	v_add_nc_u32_e32 v49, v48, v57
                                        ; implicit-def: $vgpr48
	s_delay_alu instid0(VALU_DEP_3)
	v_cmpx_ne_u32_e64 v55, v56
	s_wait_alu 0xfffe
	s_xor_b32 s0, exec_lo, s0
; %bb.563:
	s_delay_alu instid0(VALU_DEP_2) | instskip(SKIP_3) | instid1(VALU_DEP_2)
	v_cmp_lt_u32_e32 vcc_lo, 0xffffff, v49
	v_sub_nc_u32_e32 v48, v55, v56
	s_wait_alu 0xfffd
	v_cndmask_b32_e64 v55, 0, 1, vcc_lo
	v_add_co_ci_u32_e64 v48, null, 0, v48, vcc_lo
	s_delay_alu instid0(VALU_DEP_2)
	v_lshrrev_b32_e32 v49, v55, v49
; %bb.564:
	s_wait_alu 0xfffe
	s_and_not1_saveexec_b32 s0, s0
; %bb.565:
	s_delay_alu instid0(VALU_DEP_1)
	v_bfe_u32 v48, v49, 23, 1
; %bb.566:
	s_wait_alu 0xfffe
	s_or_b32 exec_lo, exec_lo, s0
	v_lshrrev_b32_e32 v49, 20, v49
	s_delay_alu instid0(VALU_DEP_2) | instskip(SKIP_3) | instid1(VALU_DEP_2)
	v_cmp_gt_i32_e32 vcc_lo, 16, v48
	v_lshrrev_b32_e32 v56, 24, v58
	v_min_i32_e32 v55, 15, v48
	s_wait_alu 0xfffd
	v_dual_cndmask_b32 v49, 7, v49 :: v_dual_and_b32 v56, 0x80, v56
	s_delay_alu instid0(VALU_DEP_1) | instskip(SKIP_1) | instid1(VALU_DEP_2)
	v_or_b32_e32 v48, v48, v49
	v_and_b32_e32 v57, 7, v49
	v_cmp_ne_u32_e32 vcc_lo, 0, v48
	v_lshlrev_b32_e32 v55, 3, v55
	s_delay_alu instid0(VALU_DEP_1) | instskip(NEXT) | instid1(VALU_DEP_1)
	v_and_b32_e32 v55, 0xf8, v55
	v_or3_b32 v55, v56, v55, v57
	s_delay_alu instid0(VALU_DEP_1) | instskip(SKIP_1) | instid1(VALU_DEP_1)
	v_lshlrev_b32_e32 v49, 16, v55
	s_wait_alu 0xfffd
	v_cndmask_b32_e32 v48, 0, v49, vcc_lo
.LBB4_567:
	s_wait_alu 0xfffe
	s_or_b32 exec_lo, exec_lo, s6
.LBB4_568:
	s_wait_alu 0xfffe
	s_or_b32 exec_lo, exec_lo, s3
	v_and_b32_e32 v49, 0x7f800000, v59
	v_wmma_f32_16x16x16_fp8_fp8 v[0:7], v[50:51], v[26:27], v[0:7]
	s_delay_alu instid0(VALU_DEP_2)
	v_cmp_ne_u32_e32 vcc_lo, 0x7f800000, v49
	v_bfrev_b32_e32 v49, 1
	s_and_saveexec_b32 s3, vcc_lo
	s_cbranch_execz .LBB4_576
; %bb.569:
	v_mov_b32_e32 v49, 0
	s_mov_b32 s6, exec_lo
	v_cmpx_ne_u32_e32 0, v59
	s_cbranch_execz .LBB4_575
; %bb.570:
	v_bfe_u32 v49, v59, 23, 8
	v_and_b32_e32 v50, 0x7fffff, v59
	s_delay_alu instid0(VALU_DEP_2) | instskip(SKIP_1) | instid1(VALU_DEP_3)
	v_sub_nc_u32_e32 v51, 0x78, v49
	v_cmp_gt_u32_e32 vcc_lo, 0x79, v49
	v_or_b32_e32 v55, 0x800000, v50
	s_wait_alu 0xfffd
	s_delay_alu instid0(VALU_DEP_3) | instskip(SKIP_3) | instid1(VALU_DEP_3)
	v_cndmask_b32_e32 v51, 0, v51, vcc_lo
	v_cmp_eq_u32_e32 vcc_lo, 0, v49
	s_wait_alu 0xfffd
	v_dual_cndmask_b32 v50, v55, v50 :: v_dual_add_nc_u32 v49, 0xffffff89, v49
	v_cndmask_b32_e64 v51, v51, 0x77, vcc_lo
	s_delay_alu instid0(VALU_DEP_2) | instskip(NEXT) | instid1(VALU_DEP_2)
	v_cndmask_b32_e64 v49, v49, 0xffffff8a, vcc_lo
	v_lshrrev_b32_e32 v56, v51, v50
	v_lshl_add_u32 v55, 0x100000, v51, -1
	v_lshlrev_b32_e64 v58, v51, 0x80000
	s_delay_alu instid0(VALU_DEP_4) | instskip(NEXT) | instid1(VALU_DEP_4)
	v_add_nc_u32_e32 v51, v51, v49
	v_bfe_u32 v57, v56, 20, 1
	s_delay_alu instid0(VALU_DEP_4) | instskip(NEXT) | instid1(VALU_DEP_2)
	v_and_b32_e32 v50, v55, v50
	v_add_nc_u32_e32 v55, -1, v57
	s_delay_alu instid0(VALU_DEP_2) | instskip(SKIP_1) | instid1(VALU_DEP_1)
	v_cmp_eq_u32_e64 s0, v50, v58
	s_wait_alu 0xf1ff
	v_cndmask_b32_e64 v50, 0, v55, s0
	v_lshrrev_b32_e32 v55, 23, v56
	s_mov_b32 s0, exec_lo
	s_delay_alu instid0(VALU_DEP_2) | instskip(NEXT) | instid1(VALU_DEP_2)
	v_add_nc_u32_e32 v50, v50, v56
	v_xor_b32_e32 v55, 1, v55
	s_delay_alu instid0(VALU_DEP_2) | instskip(NEXT) | instid1(VALU_DEP_1)
	v_and_b32_e32 v49, 0xfffff, v50
	v_add_nc_u32_e32 v50, v49, v56
                                        ; implicit-def: $vgpr49
	s_delay_alu instid0(VALU_DEP_3)
	v_cmpx_ne_u32_e64 v51, v55
	s_wait_alu 0xfffe
	s_xor_b32 s0, exec_lo, s0
; %bb.571:
	s_delay_alu instid0(VALU_DEP_2) | instskip(SKIP_3) | instid1(VALU_DEP_2)
	v_cmp_lt_u32_e32 vcc_lo, 0xffffff, v50
	v_sub_nc_u32_e32 v49, v51, v55
	s_wait_alu 0xfffd
	v_cndmask_b32_e64 v51, 0, 1, vcc_lo
	v_add_co_ci_u32_e64 v49, null, 0, v49, vcc_lo
	s_delay_alu instid0(VALU_DEP_2)
	v_lshrrev_b32_e32 v50, v51, v50
; %bb.572:
	s_wait_alu 0xfffe
	s_and_not1_saveexec_b32 s0, s0
; %bb.573:
	s_delay_alu instid0(VALU_DEP_1)
	v_bfe_u32 v49, v50, 23, 1
; %bb.574:
	s_wait_alu 0xfffe
	s_or_b32 exec_lo, exec_lo, s0
	v_lshrrev_b32_e32 v50, 20, v50
	s_delay_alu instid0(VALU_DEP_2) | instskip(SKIP_3) | instid1(VALU_DEP_2)
	v_cmp_gt_i32_e32 vcc_lo, 16, v49
	v_lshrrev_b32_e32 v51, 24, v59
	v_min_i32_e32 v55, 15, v49
	s_wait_alu 0xfffd
	v_dual_cndmask_b32 v50, 7, v50 :: v_dual_and_b32 v51, 0x80, v51
	s_delay_alu instid0(VALU_DEP_2) | instskip(NEXT) | instid1(VALU_DEP_2)
	v_lshlrev_b32_e32 v55, 3, v55
	v_and_b32_e32 v56, 7, v50
	v_or_b32_e32 v49, v49, v50
	s_delay_alu instid0(VALU_DEP_2) | instskip(NEXT) | instid1(VALU_DEP_2)
	v_or3_b32 v51, v51, v55, v56
	v_cmp_ne_u32_e32 vcc_lo, 0, v49
	s_delay_alu instid0(VALU_DEP_2) | instskip(SKIP_1) | instid1(VALU_DEP_1)
	v_lshlrev_b32_e32 v50, 24, v51
	s_wait_alu 0xfffd
	v_cndmask_b32_e32 v49, 0, v50, vcc_lo
.LBB4_575:
	s_wait_alu 0xfffe
	s_or_b32 exec_lo, exec_lo, s6
.LBB4_576:
	s_wait_alu 0xfffe
	s_or_b32 exec_lo, exec_lo, s3
	v_or_b32_e32 v50, v54, v53
	s_mov_b32 s6, s1
	s_delay_alu instid0(VALU_DEP_1)
	v_or3_b32 v48, v48, v50, v49
	buffer_store_b32 v48, v52, s[4:7], null offen offset:4
	s_wait_dscnt 0x0
	s_barrier_signal -1
	s_barrier_wait -1
	ds_store_2addr_stride64_b32 v93, v0, v1 offset1:1
	ds_store_2addr_stride64_b32 v93, v2, v3 offset0:2 offset1:3
	ds_store_2addr_stride64_b32 v93, v4, v5 offset0:4 offset1:5
	;; [unrolled: 1-line block ×3, first 2 shown]
	s_wait_dscnt 0x0
	s_barrier_signal -1
	s_barrier_wait -1
	ds_load_b128 v[0:3], v92
	s_wait_dscnt 0x0
	v_and_b32_e32 v4, 0x7f800000, v0
	s_delay_alu instid0(VALU_DEP_1)
	v_cmp_ne_u32_e32 vcc_lo, 0x7f800000, v4
	v_mov_b32_e32 v4, 0x80
	s_and_saveexec_b32 s3, vcc_lo
	s_cbranch_execz .LBB4_584
; %bb.577:
	v_mov_b32_e32 v4, 0
	s_mov_b32 s6, exec_lo
	v_cmpx_ne_u32_e32 0, v0
	s_cbranch_execz .LBB4_583
; %bb.578:
	v_bfe_u32 v4, v0, 23, 8
	s_delay_alu instid0(VALU_DEP_1) | instskip(SKIP_2) | instid1(VALU_DEP_2)
	v_sub_nc_u32_e32 v6, 0x78, v4
	v_cmp_gt_u32_e32 vcc_lo, 0x79, v4
	s_wait_alu 0xfffd
	v_dual_cndmask_b32 v6, 0, v6 :: v_dual_and_b32 v5, 0x7fffff, v0
	s_delay_alu instid0(VALU_DEP_1) | instskip(SKIP_2) | instid1(VALU_DEP_2)
	v_or_b32_e32 v7, 0x800000, v5
	v_cmp_eq_u32_e32 vcc_lo, 0, v4
	s_wait_alu 0xfffd
	v_dual_cndmask_b32 v5, v7, v5 :: v_dual_add_nc_u32 v4, 0xffffff89, v4
	v_cndmask_b32_e64 v6, v6, 0x77, vcc_lo
	s_delay_alu instid0(VALU_DEP_2) | instskip(NEXT) | instid1(VALU_DEP_2)
	v_cndmask_b32_e64 v4, v4, 0xffffff8a, vcc_lo
	v_lshrrev_b32_e32 v48, v6, v5
	v_lshl_add_u32 v7, 0x100000, v6, -1
	v_lshlrev_b32_e64 v50, v6, 0x80000
	s_delay_alu instid0(VALU_DEP_4) | instskip(NEXT) | instid1(VALU_DEP_4)
	v_add_nc_u32_e32 v6, v6, v4
	v_bfe_u32 v49, v48, 20, 1
	s_delay_alu instid0(VALU_DEP_4) | instskip(NEXT) | instid1(VALU_DEP_2)
	v_and_b32_e32 v5, v7, v5
	v_add_nc_u32_e32 v7, -1, v49
	s_delay_alu instid0(VALU_DEP_2) | instskip(SKIP_1) | instid1(VALU_DEP_1)
	v_cmp_eq_u32_e64 s0, v5, v50
	s_wait_alu 0xf1ff
	v_cndmask_b32_e64 v5, 0, v7, s0
	v_lshrrev_b32_e32 v7, 23, v48
	s_mov_b32 s0, exec_lo
	s_delay_alu instid0(VALU_DEP_2) | instskip(NEXT) | instid1(VALU_DEP_2)
	v_add_nc_u32_e32 v5, v5, v48
	v_xor_b32_e32 v7, 1, v7
	s_delay_alu instid0(VALU_DEP_2) | instskip(NEXT) | instid1(VALU_DEP_1)
	v_and_b32_e32 v4, 0xfffff, v5
	v_add_nc_u32_e32 v5, v4, v48
                                        ; implicit-def: $vgpr4
	s_delay_alu instid0(VALU_DEP_3)
	v_cmpx_ne_u32_e64 v6, v7
	s_wait_alu 0xfffe
	s_xor_b32 s0, exec_lo, s0
; %bb.579:
	s_delay_alu instid0(VALU_DEP_2) | instskip(SKIP_3) | instid1(VALU_DEP_2)
	v_cmp_lt_u32_e32 vcc_lo, 0xffffff, v5
	v_sub_nc_u32_e32 v4, v6, v7
	s_wait_alu 0xfffd
	v_cndmask_b32_e64 v6, 0, 1, vcc_lo
	v_add_co_ci_u32_e64 v4, null, 0, v4, vcc_lo
	s_delay_alu instid0(VALU_DEP_2)
	v_lshrrev_b32_e32 v5, v6, v5
; %bb.580:
	s_wait_alu 0xfffe
	s_and_not1_saveexec_b32 s0, s0
; %bb.581:
	s_delay_alu instid0(VALU_DEP_1)
	v_bfe_u32 v4, v5, 23, 1
; %bb.582:
	s_wait_alu 0xfffe
	s_or_b32 exec_lo, exec_lo, s0
	v_lshrrev_b32_e32 v5, 20, v5
	s_delay_alu instid0(VALU_DEP_2) | instskip(SKIP_3) | instid1(VALU_DEP_2)
	v_cmp_gt_i32_e32 vcc_lo, 16, v4
	v_min_i32_e32 v6, 15, v4
	v_lshrrev_b32_e32 v0, 24, v0
	s_wait_alu 0xfffd
	v_dual_cndmask_b32 v5, 7, v5 :: v_dual_lshlrev_b32 v6, 3, v6
	s_delay_alu instid0(VALU_DEP_2) | instskip(NEXT) | instid1(VALU_DEP_2)
	v_and_b32_e32 v0, 0x80, v0
	v_or_b32_e32 v4, v4, v5
	s_delay_alu instid0(VALU_DEP_3) | instskip(NEXT) | instid1(VALU_DEP_2)
	v_and_b32_e32 v6, 0xf8, v6
	v_cmp_ne_u32_e32 vcc_lo, 0, v4
	v_and_b32_e32 v7, 7, v5
	s_delay_alu instid0(VALU_DEP_1) | instskip(SKIP_1) | instid1(VALU_DEP_1)
	v_or3_b32 v0, v6, v0, v7
	s_wait_alu 0xfffd
	v_cndmask_b32_e32 v4, 0, v0, vcc_lo
.LBB4_583:
	s_wait_alu 0xfffe
	s_or_b32 exec_lo, exec_lo, s6
.LBB4_584:
	s_wait_alu 0xfffe
	s_or_b32 exec_lo, exec_lo, s3
	v_and_b32_e32 v0, 0x7f800000, v1
	s_delay_alu instid0(VALU_DEP_1)
	v_cmp_ne_u32_e32 vcc_lo, 0x7f800000, v0
	v_mov_b32_e32 v0, 0x8000
	s_and_saveexec_b32 s3, vcc_lo
	s_cbranch_execz .LBB4_592
; %bb.585:
	v_mov_b32_e32 v0, 0
	s_mov_b32 s6, exec_lo
	v_cmpx_ne_u32_e32 0, v1
	s_cbranch_execz .LBB4_591
; %bb.586:
	v_bfe_u32 v0, v1, 23, 8
	s_delay_alu instid0(VALU_DEP_1) | instskip(SKIP_2) | instid1(VALU_DEP_2)
	v_sub_nc_u32_e32 v6, 0x78, v0
	v_cmp_gt_u32_e32 vcc_lo, 0x79, v0
	s_wait_alu 0xfffd
	v_dual_cndmask_b32 v6, 0, v6 :: v_dual_and_b32 v5, 0x7fffff, v1
	s_delay_alu instid0(VALU_DEP_1) | instskip(SKIP_2) | instid1(VALU_DEP_2)
	v_or_b32_e32 v7, 0x800000, v5
	v_cmp_eq_u32_e32 vcc_lo, 0, v0
	s_wait_alu 0xfffd
	v_dual_cndmask_b32 v5, v7, v5 :: v_dual_add_nc_u32 v0, 0xffffff89, v0
	v_cndmask_b32_e64 v6, v6, 0x77, vcc_lo
	s_delay_alu instid0(VALU_DEP_2) | instskip(NEXT) | instid1(VALU_DEP_2)
	v_cndmask_b32_e64 v0, v0, 0xffffff8a, vcc_lo
	v_lshrrev_b32_e32 v48, v6, v5
	v_lshl_add_u32 v7, 0x100000, v6, -1
	v_lshlrev_b32_e64 v50, v6, 0x80000
	s_delay_alu instid0(VALU_DEP_4) | instskip(NEXT) | instid1(VALU_DEP_4)
	v_add_nc_u32_e32 v6, v6, v0
	v_bfe_u32 v49, v48, 20, 1
	s_delay_alu instid0(VALU_DEP_4) | instskip(NEXT) | instid1(VALU_DEP_2)
	v_and_b32_e32 v5, v7, v5
	v_add_nc_u32_e32 v7, -1, v49
	s_delay_alu instid0(VALU_DEP_2) | instskip(SKIP_1) | instid1(VALU_DEP_1)
	v_cmp_eq_u32_e64 s0, v5, v50
	s_wait_alu 0xf1ff
	v_cndmask_b32_e64 v5, 0, v7, s0
	v_lshrrev_b32_e32 v7, 23, v48
	s_mov_b32 s0, exec_lo
	s_delay_alu instid0(VALU_DEP_2) | instskip(NEXT) | instid1(VALU_DEP_2)
	v_add_nc_u32_e32 v5, v5, v48
	v_xor_b32_e32 v7, 1, v7
	s_delay_alu instid0(VALU_DEP_2) | instskip(NEXT) | instid1(VALU_DEP_1)
	v_and_b32_e32 v0, 0xfffff, v5
	v_add_nc_u32_e32 v5, v0, v48
                                        ; implicit-def: $vgpr0
	s_delay_alu instid0(VALU_DEP_3)
	v_cmpx_ne_u32_e64 v6, v7
	s_wait_alu 0xfffe
	s_xor_b32 s0, exec_lo, s0
; %bb.587:
	s_delay_alu instid0(VALU_DEP_2) | instskip(SKIP_3) | instid1(VALU_DEP_2)
	v_cmp_lt_u32_e32 vcc_lo, 0xffffff, v5
	v_sub_nc_u32_e32 v0, v6, v7
	s_wait_alu 0xfffd
	v_cndmask_b32_e64 v6, 0, 1, vcc_lo
	v_add_co_ci_u32_e64 v0, null, 0, v0, vcc_lo
	s_delay_alu instid0(VALU_DEP_2)
	v_lshrrev_b32_e32 v5, v6, v5
; %bb.588:
	s_wait_alu 0xfffe
	s_and_not1_saveexec_b32 s0, s0
; %bb.589:
	s_delay_alu instid0(VALU_DEP_1)
	v_bfe_u32 v0, v5, 23, 1
; %bb.590:
	s_wait_alu 0xfffe
	s_or_b32 exec_lo, exec_lo, s0
	v_lshrrev_b32_e32 v5, 20, v5
	s_delay_alu instid0(VALU_DEP_2) | instskip(SKIP_3) | instid1(VALU_DEP_3)
	v_min_i32_e32 v6, 15, v0
	v_cmp_gt_i32_e32 vcc_lo, 16, v0
	v_lshrrev_b32_e32 v1, 24, v1
	s_wait_alu 0xfffd
	v_dual_cndmask_b32 v5, 7, v5 :: v_dual_lshlrev_b32 v6, 3, v6
	s_delay_alu instid0(VALU_DEP_2) | instskip(NEXT) | instid1(VALU_DEP_2)
	v_and_b32_e32 v1, 0x80, v1
	v_and_b32_e32 v6, 0xf8, v6
	s_delay_alu instid0(VALU_DEP_3) | instskip(SKIP_1) | instid1(VALU_DEP_2)
	v_and_b32_e32 v7, 7, v5
	v_or_b32_e32 v0, v0, v5
	v_or3_b32 v1, v1, v6, v7
	s_delay_alu instid0(VALU_DEP_2) | instskip(NEXT) | instid1(VALU_DEP_2)
	v_cmp_ne_u32_e32 vcc_lo, 0, v0
	v_lshlrev_b32_e32 v1, 8, v1
	s_wait_alu 0xfffd
	s_delay_alu instid0(VALU_DEP_1)
	v_cndmask_b32_e32 v0, 0, v1, vcc_lo
.LBB4_591:
	s_wait_alu 0xfffe
	s_or_b32 exec_lo, exec_lo, s6
.LBB4_592:
	s_wait_alu 0xfffe
	s_or_b32 exec_lo, exec_lo, s3
	v_and_b32_e32 v1, 0x7f800000, v2
	v_mov_b32_e32 v53, 0x800000
	s_mov_b32 s3, exec_lo
	s_delay_alu instid0(VALU_DEP_2)
	v_cmpx_ne_u32_e32 0x7f800000, v1
	s_cbranch_execz .LBB4_600
; %bb.593:
	v_mov_b32_e32 v53, 0
	s_mov_b32 s6, exec_lo
	v_cmpx_ne_u32_e32 0, v2
	s_cbranch_execz .LBB4_599
; %bb.594:
	v_bfe_u32 v1, v2, 23, 8
	v_and_b32_e32 v5, 0x7fffff, v2
	s_delay_alu instid0(VALU_DEP_2) | instskip(SKIP_1) | instid1(VALU_DEP_3)
	v_sub_nc_u32_e32 v6, 0x78, v1
	v_cmp_gt_u32_e32 vcc_lo, 0x79, v1
	v_or_b32_e32 v7, 0x800000, v5
	s_wait_alu 0xfffd
	s_delay_alu instid0(VALU_DEP_3)
	v_cndmask_b32_e32 v6, 0, v6, vcc_lo
	v_cmp_eq_u32_e32 vcc_lo, 0, v1
	v_add_nc_u32_e32 v1, 0xffffff89, v1
	s_wait_alu 0xfffd
	v_cndmask_b32_e32 v5, v7, v5, vcc_lo
	v_cndmask_b32_e64 v6, v6, 0x77, vcc_lo
	s_delay_alu instid0(VALU_DEP_3) | instskip(NEXT) | instid1(VALU_DEP_2)
	v_cndmask_b32_e64 v1, v1, 0xffffff8a, vcc_lo
	v_lshrrev_b32_e32 v48, v6, v5
	v_lshl_add_u32 v7, 0x100000, v6, -1
	v_lshlrev_b32_e64 v50, v6, 0x80000
	s_delay_alu instid0(VALU_DEP_4) | instskip(NEXT) | instid1(VALU_DEP_4)
	v_add_nc_u32_e32 v6, v6, v1
	v_bfe_u32 v49, v48, 20, 1
	s_delay_alu instid0(VALU_DEP_4) | instskip(NEXT) | instid1(VALU_DEP_2)
	v_and_b32_e32 v5, v7, v5
	v_add_nc_u32_e32 v7, -1, v49
	s_delay_alu instid0(VALU_DEP_2) | instskip(SKIP_1) | instid1(VALU_DEP_1)
	v_cmp_eq_u32_e64 s0, v5, v50
	s_wait_alu 0xf1ff
	v_cndmask_b32_e64 v5, 0, v7, s0
	v_lshrrev_b32_e32 v7, 23, v48
	s_mov_b32 s0, exec_lo
	s_delay_alu instid0(VALU_DEP_2) | instskip(NEXT) | instid1(VALU_DEP_2)
	v_add_nc_u32_e32 v5, v5, v48
	v_xor_b32_e32 v7, 1, v7
	s_delay_alu instid0(VALU_DEP_2) | instskip(NEXT) | instid1(VALU_DEP_1)
	v_and_b32_e32 v1, 0xfffff, v5
	v_add_nc_u32_e32 v5, v1, v48
                                        ; implicit-def: $vgpr1
	s_delay_alu instid0(VALU_DEP_3)
	v_cmpx_ne_u32_e64 v6, v7
	s_wait_alu 0xfffe
	s_xor_b32 s0, exec_lo, s0
; %bb.595:
	s_delay_alu instid0(VALU_DEP_2) | instskip(SKIP_3) | instid1(VALU_DEP_2)
	v_cmp_lt_u32_e32 vcc_lo, 0xffffff, v5
	v_sub_nc_u32_e32 v1, v6, v7
	s_wait_alu 0xfffd
	v_cndmask_b32_e64 v6, 0, 1, vcc_lo
	v_add_co_ci_u32_e64 v1, null, 0, v1, vcc_lo
	s_delay_alu instid0(VALU_DEP_2)
	v_lshrrev_b32_e32 v5, v6, v5
; %bb.596:
	s_wait_alu 0xfffe
	s_and_not1_saveexec_b32 s0, s0
; %bb.597:
	s_delay_alu instid0(VALU_DEP_1)
	v_bfe_u32 v1, v5, 23, 1
; %bb.598:
	s_wait_alu 0xfffe
	s_or_b32 exec_lo, exec_lo, s0
	v_lshrrev_b32_e32 v5, 20, v5
	s_delay_alu instid0(VALU_DEP_2) | instskip(SKIP_3) | instid1(VALU_DEP_3)
	v_min_i32_e32 v6, 15, v1
	v_cmp_gt_i32_e32 vcc_lo, 16, v1
	v_lshrrev_b32_e32 v2, 24, v2
	s_wait_alu 0xfffd
	v_dual_cndmask_b32 v5, 7, v5 :: v_dual_lshlrev_b32 v6, 3, v6
	s_delay_alu instid0(VALU_DEP_2) | instskip(NEXT) | instid1(VALU_DEP_2)
	v_and_b32_e32 v2, 0x80, v2
	v_and_b32_e32 v6, 0xf8, v6
	s_delay_alu instid0(VALU_DEP_3) | instskip(SKIP_1) | instid1(VALU_DEP_2)
	v_and_b32_e32 v7, 7, v5
	v_or_b32_e32 v1, v1, v5
	v_or3_b32 v2, v2, v6, v7
	s_delay_alu instid0(VALU_DEP_2) | instskip(NEXT) | instid1(VALU_DEP_2)
	v_cmp_ne_u32_e32 vcc_lo, 0, v1
	v_lshlrev_b32_e32 v2, 16, v2
	s_wait_alu 0xfffd
	s_delay_alu instid0(VALU_DEP_1)
	v_cndmask_b32_e32 v53, 0, v2, vcc_lo
.LBB4_599:
	s_wait_alu 0xfffe
	s_or_b32 exec_lo, exec_lo, s6
.LBB4_600:
	s_wait_alu 0xfffe
	s_or_b32 exec_lo, exec_lo, s3
	v_and_b32_e32 v1, 0x7f800000, v3
	v_bfrev_b32_e32 v54, 1
	s_mov_b32 s3, exec_lo
	s_delay_alu instid0(VALU_DEP_2)
	v_cmpx_ne_u32_e32 0x7f800000, v1
	s_cbranch_execz .LBB4_608
; %bb.601:
	v_mov_b32_e32 v54, 0
	s_mov_b32 s6, exec_lo
	v_cmpx_ne_u32_e32 0, v3
	s_cbranch_execz .LBB4_607
; %bb.602:
	v_bfe_u32 v1, v3, 23, 8
	s_delay_alu instid0(VALU_DEP_1) | instskip(SKIP_2) | instid1(VALU_DEP_2)
	v_sub_nc_u32_e32 v5, 0x78, v1
	v_cmp_gt_u32_e32 vcc_lo, 0x79, v1
	s_wait_alu 0xfffd
	v_dual_cndmask_b32 v5, 0, v5 :: v_dual_and_b32 v2, 0x7fffff, v3
	s_delay_alu instid0(VALU_DEP_1) | instskip(SKIP_2) | instid1(VALU_DEP_2)
	v_or_b32_e32 v6, 0x800000, v2
	v_cmp_eq_u32_e32 vcc_lo, 0, v1
	s_wait_alu 0xfffd
	v_dual_cndmask_b32 v2, v6, v2 :: v_dual_add_nc_u32 v1, 0xffffff89, v1
	v_cndmask_b32_e64 v5, v5, 0x77, vcc_lo
	s_delay_alu instid0(VALU_DEP_2) | instskip(NEXT) | instid1(VALU_DEP_2)
	v_cndmask_b32_e64 v1, v1, 0xffffff8a, vcc_lo
	v_lshrrev_b32_e32 v7, v5, v2
	v_lshl_add_u32 v6, 0x100000, v5, -1
	v_lshlrev_b32_e64 v49, v5, 0x80000
	s_delay_alu instid0(VALU_DEP_4) | instskip(NEXT) | instid1(VALU_DEP_4)
	v_add_nc_u32_e32 v5, v5, v1
	v_bfe_u32 v48, v7, 20, 1
	s_delay_alu instid0(VALU_DEP_4) | instskip(NEXT) | instid1(VALU_DEP_2)
	v_and_b32_e32 v2, v6, v2
	v_add_nc_u32_e32 v6, -1, v48
	s_delay_alu instid0(VALU_DEP_2) | instskip(SKIP_1) | instid1(VALU_DEP_1)
	v_cmp_eq_u32_e64 s0, v2, v49
	s_wait_alu 0xf1ff
	v_cndmask_b32_e64 v2, 0, v6, s0
	v_lshrrev_b32_e32 v6, 23, v7
	s_mov_b32 s0, exec_lo
	s_delay_alu instid0(VALU_DEP_2) | instskip(NEXT) | instid1(VALU_DEP_2)
	v_add_nc_u32_e32 v2, v2, v7
	v_xor_b32_e32 v6, 1, v6
	s_delay_alu instid0(VALU_DEP_2) | instskip(NEXT) | instid1(VALU_DEP_1)
	v_and_b32_e32 v1, 0xfffff, v2
	v_add_nc_u32_e32 v2, v1, v7
                                        ; implicit-def: $vgpr1
	s_delay_alu instid0(VALU_DEP_3)
	v_cmpx_ne_u32_e64 v5, v6
	s_wait_alu 0xfffe
	s_xor_b32 s0, exec_lo, s0
; %bb.603:
	s_delay_alu instid0(VALU_DEP_2) | instskip(SKIP_3) | instid1(VALU_DEP_2)
	v_cmp_lt_u32_e32 vcc_lo, 0xffffff, v2
	v_sub_nc_u32_e32 v1, v5, v6
	s_wait_alu 0xfffd
	v_cndmask_b32_e64 v5, 0, 1, vcc_lo
	v_add_co_ci_u32_e64 v1, null, 0, v1, vcc_lo
	s_delay_alu instid0(VALU_DEP_2)
	v_lshrrev_b32_e32 v2, v5, v2
; %bb.604:
	s_wait_alu 0xfffe
	s_and_not1_saveexec_b32 s0, s0
; %bb.605:
	s_delay_alu instid0(VALU_DEP_1)
	v_bfe_u32 v1, v2, 23, 1
; %bb.606:
	s_wait_alu 0xfffe
	s_or_b32 exec_lo, exec_lo, s0
	v_lshrrev_b32_e32 v2, 20, v2
	s_delay_alu instid0(VALU_DEP_2) | instskip(SKIP_3) | instid1(VALU_DEP_2)
	v_cmp_gt_i32_e32 vcc_lo, 16, v1
	v_lshrrev_b32_e32 v3, 24, v3
	v_min_i32_e32 v5, 15, v1
	s_wait_alu 0xfffd
	v_dual_cndmask_b32 v2, 7, v2 :: v_dual_and_b32 v3, 0x80, v3
	s_delay_alu instid0(VALU_DEP_1) | instskip(SKIP_1) | instid1(VALU_DEP_2)
	v_or_b32_e32 v1, v1, v2
	v_and_b32_e32 v6, 7, v2
	v_cmp_ne_u32_e32 vcc_lo, 0, v1
	v_lshlrev_b32_e32 v5, 3, v5
	s_delay_alu instid0(VALU_DEP_1) | instskip(NEXT) | instid1(VALU_DEP_1)
	v_or3_b32 v3, v3, v5, v6
	v_lshlrev_b32_e32 v2, 24, v3
	s_wait_alu 0xfffd
	s_delay_alu instid0(VALU_DEP_1)
	v_cndmask_b32_e32 v54, 0, v2, vcc_lo
.LBB4_607:
	s_wait_alu 0xfffe
	s_or_b32 exec_lo, exec_lo, s6
.LBB4_608:
	s_wait_alu 0xfffe
	s_or_b32 exec_lo, exec_lo, s3
	ds_load_b128 v[48:51], v92 offset:16
	v_or_b32_e32 v55, v0, v4
	v_wmma_f32_16x16x16_fp8_fp8 v[0:7], v[44:45], v[28:29], 0
	s_mov_b32 s6, s1
	s_mov_b32 s3, exec_lo
	s_delay_alu instid0(VALU_DEP_2) | instskip(SKIP_4) | instid1(VALU_DEP_1)
	v_or3_b32 v54, v53, v55, v54
	v_mov_b32_e32 v53, 0x80
	buffer_store_b32 v54, v52, s[4:7], null offen offset:64
	s_wait_dscnt 0x0
	v_and_b32_e32 v56, 0x7f800000, v48
	v_cmpx_ne_u32_e32 0x7f800000, v56
	s_cbranch_execz .LBB4_616
; %bb.609:
	v_mov_b32_e32 v53, 0
	s_mov_b32 s6, exec_lo
	v_cmpx_ne_u32_e32 0, v48
	s_cbranch_execz .LBB4_615
; %bb.610:
	v_bfe_u32 v53, v48, 23, 8
	s_delay_alu instid0(VALU_DEP_1) | instskip(SKIP_2) | instid1(VALU_DEP_2)
	v_sub_nc_u32_e32 v55, 0x78, v53
	v_cmp_gt_u32_e32 vcc_lo, 0x79, v53
	s_wait_alu 0xfffd
	v_dual_cndmask_b32 v55, 0, v55 :: v_dual_and_b32 v54, 0x7fffff, v48
	s_delay_alu instid0(VALU_DEP_1) | instskip(SKIP_2) | instid1(VALU_DEP_2)
	v_or_b32_e32 v56, 0x800000, v54
	v_cmp_eq_u32_e32 vcc_lo, 0, v53
	s_wait_alu 0xfffd
	v_dual_cndmask_b32 v54, v56, v54 :: v_dual_add_nc_u32 v53, 0xffffff89, v53
	v_cndmask_b32_e64 v55, v55, 0x77, vcc_lo
	s_delay_alu instid0(VALU_DEP_2) | instskip(NEXT) | instid1(VALU_DEP_2)
	v_cndmask_b32_e64 v53, v53, 0xffffff8a, vcc_lo
	v_lshrrev_b32_e32 v57, v55, v54
	v_lshl_add_u32 v56, 0x100000, v55, -1
	v_lshlrev_b32_e64 v59, v55, 0x80000
	s_delay_alu instid0(VALU_DEP_4) | instskip(NEXT) | instid1(VALU_DEP_4)
	v_add_nc_u32_e32 v55, v55, v53
	v_bfe_u32 v58, v57, 20, 1
	s_delay_alu instid0(VALU_DEP_4) | instskip(NEXT) | instid1(VALU_DEP_2)
	v_and_b32_e32 v54, v56, v54
	v_add_nc_u32_e32 v56, -1, v58
	s_delay_alu instid0(VALU_DEP_2) | instskip(SKIP_1) | instid1(VALU_DEP_1)
	v_cmp_eq_u32_e64 s0, v54, v59
	s_wait_alu 0xf1ff
	v_cndmask_b32_e64 v54, 0, v56, s0
	v_lshrrev_b32_e32 v56, 23, v57
	s_mov_b32 s0, exec_lo
	s_delay_alu instid0(VALU_DEP_2) | instskip(NEXT) | instid1(VALU_DEP_2)
	v_add_nc_u32_e32 v54, v54, v57
	v_xor_b32_e32 v56, 1, v56
	s_delay_alu instid0(VALU_DEP_2) | instskip(NEXT) | instid1(VALU_DEP_1)
	v_and_b32_e32 v53, 0xfffff, v54
	v_add_nc_u32_e32 v54, v53, v57
                                        ; implicit-def: $vgpr53
	s_delay_alu instid0(VALU_DEP_3)
	v_cmpx_ne_u32_e64 v55, v56
	s_wait_alu 0xfffe
	s_xor_b32 s0, exec_lo, s0
; %bb.611:
	s_delay_alu instid0(VALU_DEP_2) | instskip(SKIP_3) | instid1(VALU_DEP_2)
	v_cmp_lt_u32_e32 vcc_lo, 0xffffff, v54
	v_sub_nc_u32_e32 v53, v55, v56
	s_wait_alu 0xfffd
	v_cndmask_b32_e64 v55, 0, 1, vcc_lo
	v_add_co_ci_u32_e64 v53, null, 0, v53, vcc_lo
	s_delay_alu instid0(VALU_DEP_2)
	v_lshrrev_b32_e32 v54, v55, v54
; %bb.612:
	s_wait_alu 0xfffe
	s_and_not1_saveexec_b32 s0, s0
; %bb.613:
	s_delay_alu instid0(VALU_DEP_1)
	v_bfe_u32 v53, v54, 23, 1
; %bb.614:
	s_wait_alu 0xfffe
	s_or_b32 exec_lo, exec_lo, s0
	v_lshrrev_b32_e32 v54, 20, v54
	s_delay_alu instid0(VALU_DEP_2) | instskip(SKIP_3) | instid1(VALU_DEP_2)
	v_cmp_gt_i32_e32 vcc_lo, 16, v53
	v_min_i32_e32 v55, 15, v53
	v_lshrrev_b32_e32 v48, 24, v48
	s_wait_alu 0xfffd
	v_dual_cndmask_b32 v54, 7, v54 :: v_dual_lshlrev_b32 v55, 3, v55
	s_delay_alu instid0(VALU_DEP_2) | instskip(NEXT) | instid1(VALU_DEP_2)
	v_and_b32_e32 v48, 0x80, v48
	v_or_b32_e32 v53, v53, v54
	s_delay_alu instid0(VALU_DEP_3) | instskip(NEXT) | instid1(VALU_DEP_2)
	v_and_b32_e32 v55, 0xf8, v55
	v_cmp_ne_u32_e32 vcc_lo, 0, v53
	v_and_b32_e32 v56, 7, v54
	s_delay_alu instid0(VALU_DEP_1) | instskip(SKIP_1) | instid1(VALU_DEP_1)
	v_or3_b32 v48, v55, v48, v56
	s_wait_alu 0xfffd
	v_cndmask_b32_e32 v53, 0, v48, vcc_lo
.LBB4_615:
	s_wait_alu 0xfffe
	s_or_b32 exec_lo, exec_lo, s6
.LBB4_616:
	s_delay_alu instid0(SALU_CYCLE_1) | instskip(SKIP_2) | instid1(VALU_DEP_2)
	s_or_b32 exec_lo, exec_lo, s3
	v_and_b32_e32 v48, 0x7f800000, v49
	v_wmma_f32_16x16x16_fp8_fp8 v[0:7], v[46:47], v[30:31], v[0:7]
	v_cmp_ne_u32_e32 vcc_lo, 0x7f800000, v48
	v_mov_b32_e32 v48, 0x8000
	s_and_saveexec_b32 s3, vcc_lo
	s_cbranch_execz .LBB4_624
; %bb.617:
	v_mov_b32_e32 v48, 0
	s_mov_b32 s6, exec_lo
	v_cmpx_ne_u32_e32 0, v49
	s_cbranch_execz .LBB4_623
; %bb.618:
	v_bfe_u32 v48, v49, 23, 8
	s_delay_alu instid0(VALU_DEP_1) | instskip(SKIP_2) | instid1(VALU_DEP_2)
	v_sub_nc_u32_e32 v55, 0x78, v48
	v_cmp_gt_u32_e32 vcc_lo, 0x79, v48
	s_wait_alu 0xfffd
	v_dual_cndmask_b32 v55, 0, v55 :: v_dual_and_b32 v54, 0x7fffff, v49
	s_delay_alu instid0(VALU_DEP_1) | instskip(SKIP_4) | instid1(VALU_DEP_2)
	v_or_b32_e32 v56, 0x800000, v54
	v_cmp_eq_u32_e32 vcc_lo, 0, v48
	v_add_nc_u32_e32 v48, 0xffffff89, v48
	s_wait_alu 0xfffd
	v_cndmask_b32_e64 v55, v55, 0x77, vcc_lo
	v_cndmask_b32_e64 v48, v48, 0xffffff8a, vcc_lo
	v_cndmask_b32_e32 v54, v56, v54, vcc_lo
	s_delay_alu instid0(VALU_DEP_3) | instskip(SKIP_1) | instid1(VALU_DEP_3)
	v_lshl_add_u32 v56, 0x100000, v55, -1
	v_lshlrev_b32_e64 v59, v55, 0x80000
	v_lshrrev_b32_e32 v57, v55, v54
	v_add_nc_u32_e32 v55, v55, v48
	s_delay_alu instid0(VALU_DEP_4) | instskip(NEXT) | instid1(VALU_DEP_3)
	v_and_b32_e32 v54, v56, v54
	v_bfe_u32 v58, v57, 20, 1
	s_delay_alu instid0(VALU_DEP_2) | instskip(NEXT) | instid1(VALU_DEP_2)
	v_cmp_eq_u32_e64 s0, v54, v59
	v_add_nc_u32_e32 v56, -1, v58
	s_wait_alu 0xf1ff
	s_delay_alu instid0(VALU_DEP_1) | instskip(SKIP_2) | instid1(VALU_DEP_2)
	v_cndmask_b32_e64 v54, 0, v56, s0
	v_lshrrev_b32_e32 v56, 23, v57
	s_mov_b32 s0, exec_lo
	v_add_nc_u32_e32 v54, v54, v57
	s_delay_alu instid0(VALU_DEP_2) | instskip(NEXT) | instid1(VALU_DEP_2)
	v_xor_b32_e32 v56, 1, v56
	v_and_b32_e32 v48, 0xfffff, v54
	s_delay_alu instid0(VALU_DEP_1) | instskip(NEXT) | instid1(VALU_DEP_3)
	v_add_nc_u32_e32 v54, v48, v57
                                        ; implicit-def: $vgpr48
	v_cmpx_ne_u32_e64 v55, v56
	s_wait_alu 0xfffe
	s_xor_b32 s0, exec_lo, s0
; %bb.619:
	s_delay_alu instid0(VALU_DEP_2) | instskip(SKIP_3) | instid1(VALU_DEP_2)
	v_cmp_lt_u32_e32 vcc_lo, 0xffffff, v54
	v_sub_nc_u32_e32 v48, v55, v56
	s_wait_alu 0xfffd
	v_cndmask_b32_e64 v55, 0, 1, vcc_lo
	v_add_co_ci_u32_e64 v48, null, 0, v48, vcc_lo
	s_delay_alu instid0(VALU_DEP_2)
	v_lshrrev_b32_e32 v54, v55, v54
; %bb.620:
	s_wait_alu 0xfffe
	s_and_not1_saveexec_b32 s0, s0
; %bb.621:
	s_delay_alu instid0(VALU_DEP_1)
	v_bfe_u32 v48, v54, 23, 1
; %bb.622:
	s_wait_alu 0xfffe
	s_or_b32 exec_lo, exec_lo, s0
	v_lshrrev_b32_e32 v54, 20, v54
	s_delay_alu instid0(VALU_DEP_2) | instskip(SKIP_3) | instid1(VALU_DEP_2)
	v_cmp_gt_i32_e32 vcc_lo, 16, v48
	v_min_i32_e32 v55, 15, v48
	v_lshrrev_b32_e32 v49, 24, v49
	s_wait_alu 0xfffd
	v_dual_cndmask_b32 v54, 7, v54 :: v_dual_lshlrev_b32 v55, 3, v55
	s_delay_alu instid0(VALU_DEP_2) | instskip(NEXT) | instid1(VALU_DEP_2)
	v_and_b32_e32 v49, 0x80, v49
	v_or_b32_e32 v48, v48, v54
	v_and_b32_e32 v56, 7, v54
	s_delay_alu instid0(VALU_DEP_2) | instskip(SKIP_1) | instid1(VALU_DEP_1)
	v_cmp_ne_u32_e32 vcc_lo, 0, v48
	v_and_b32_e32 v55, 0xf8, v55
	v_or3_b32 v49, v49, v55, v56
	s_delay_alu instid0(VALU_DEP_1) | instskip(SKIP_1) | instid1(VALU_DEP_1)
	v_lshlrev_b32_e32 v49, 8, v49
	s_wait_alu 0xfffd
	v_cndmask_b32_e32 v48, 0, v49, vcc_lo
.LBB4_623:
	s_wait_alu 0xfffe
	s_or_b32 exec_lo, exec_lo, s6
.LBB4_624:
	s_wait_alu 0xfffe
	s_or_b32 exec_lo, exec_lo, s3
	v_and_b32_e32 v49, 0x7f800000, v50
	v_wmma_f32_16x16x16_fp8_fp8 v[0:7], v[40:41], v[24:25], v[0:7]
	s_delay_alu instid0(VALU_DEP_2)
	v_cmp_ne_u32_e32 vcc_lo, 0x7f800000, v49
	v_mov_b32_e32 v49, 0x800000
	s_and_saveexec_b32 s3, vcc_lo
	s_cbranch_execz .LBB4_632
; %bb.625:
	v_mov_b32_e32 v49, 0
	s_mov_b32 s6, exec_lo
	v_cmpx_ne_u32_e32 0, v50
	s_cbranch_execz .LBB4_631
; %bb.626:
	v_bfe_u32 v49, v50, 23, 8
	s_delay_alu instid0(VALU_DEP_1) | instskip(SKIP_2) | instid1(VALU_DEP_2)
	v_sub_nc_u32_e32 v55, 0x78, v49
	v_cmp_gt_u32_e32 vcc_lo, 0x79, v49
	s_wait_alu 0xfffd
	v_dual_cndmask_b32 v55, 0, v55 :: v_dual_and_b32 v54, 0x7fffff, v50
	s_delay_alu instid0(VALU_DEP_1) | instskip(SKIP_2) | instid1(VALU_DEP_2)
	v_or_b32_e32 v56, 0x800000, v54
	v_cmp_eq_u32_e32 vcc_lo, 0, v49
	s_wait_alu 0xfffd
	v_dual_cndmask_b32 v54, v56, v54 :: v_dual_add_nc_u32 v49, 0xffffff89, v49
	v_cndmask_b32_e64 v55, v55, 0x77, vcc_lo
	s_delay_alu instid0(VALU_DEP_2) | instskip(NEXT) | instid1(VALU_DEP_2)
	v_cndmask_b32_e64 v49, v49, 0xffffff8a, vcc_lo
	v_lshrrev_b32_e32 v57, v55, v54
	v_lshl_add_u32 v56, 0x100000, v55, -1
	v_lshlrev_b32_e64 v59, v55, 0x80000
	s_delay_alu instid0(VALU_DEP_4) | instskip(NEXT) | instid1(VALU_DEP_4)
	v_add_nc_u32_e32 v55, v55, v49
	v_bfe_u32 v58, v57, 20, 1
	s_delay_alu instid0(VALU_DEP_4) | instskip(NEXT) | instid1(VALU_DEP_2)
	v_and_b32_e32 v54, v56, v54
	v_add_nc_u32_e32 v56, -1, v58
	s_delay_alu instid0(VALU_DEP_2) | instskip(SKIP_1) | instid1(VALU_DEP_1)
	v_cmp_eq_u32_e64 s0, v54, v59
	s_wait_alu 0xf1ff
	v_cndmask_b32_e64 v54, 0, v56, s0
	v_lshrrev_b32_e32 v56, 23, v57
	s_mov_b32 s0, exec_lo
	s_delay_alu instid0(VALU_DEP_2) | instskip(NEXT) | instid1(VALU_DEP_2)
	v_add_nc_u32_e32 v54, v54, v57
	v_xor_b32_e32 v56, 1, v56
	s_delay_alu instid0(VALU_DEP_2) | instskip(NEXT) | instid1(VALU_DEP_1)
	v_and_b32_e32 v49, 0xfffff, v54
	v_add_nc_u32_e32 v54, v49, v57
                                        ; implicit-def: $vgpr49
	s_delay_alu instid0(VALU_DEP_3)
	v_cmpx_ne_u32_e64 v55, v56
	s_wait_alu 0xfffe
	s_xor_b32 s0, exec_lo, s0
; %bb.627:
	s_delay_alu instid0(VALU_DEP_2) | instskip(SKIP_3) | instid1(VALU_DEP_2)
	v_cmp_lt_u32_e32 vcc_lo, 0xffffff, v54
	v_sub_nc_u32_e32 v49, v55, v56
	s_wait_alu 0xfffd
	v_cndmask_b32_e64 v55, 0, 1, vcc_lo
	v_add_co_ci_u32_e64 v49, null, 0, v49, vcc_lo
	s_delay_alu instid0(VALU_DEP_2)
	v_lshrrev_b32_e32 v54, v55, v54
; %bb.628:
	s_wait_alu 0xfffe
	s_and_not1_saveexec_b32 s0, s0
; %bb.629:
	s_delay_alu instid0(VALU_DEP_1)
	v_bfe_u32 v49, v54, 23, 1
; %bb.630:
	s_wait_alu 0xfffe
	s_or_b32 exec_lo, exec_lo, s0
	v_lshrrev_b32_e32 v54, 20, v54
	s_delay_alu instid0(VALU_DEP_2) | instskip(SKIP_3) | instid1(VALU_DEP_3)
	v_min_i32_e32 v55, 15, v49
	v_cmp_gt_i32_e32 vcc_lo, 16, v49
	v_lshrrev_b32_e32 v50, 24, v50
	s_wait_alu 0xfffd
	v_dual_cndmask_b32 v54, 7, v54 :: v_dual_lshlrev_b32 v55, 3, v55
	s_delay_alu instid0(VALU_DEP_2) | instskip(NEXT) | instid1(VALU_DEP_2)
	v_and_b32_e32 v50, 0x80, v50
	v_and_b32_e32 v55, 0xf8, v55
	s_delay_alu instid0(VALU_DEP_3) | instskip(SKIP_1) | instid1(VALU_DEP_2)
	v_and_b32_e32 v56, 7, v54
	v_or_b32_e32 v49, v49, v54
	v_or3_b32 v50, v50, v55, v56
	s_delay_alu instid0(VALU_DEP_2) | instskip(NEXT) | instid1(VALU_DEP_2)
	v_cmp_ne_u32_e32 vcc_lo, 0, v49
	v_lshlrev_b32_e32 v50, 16, v50
	s_wait_alu 0xfffd
	s_delay_alu instid0(VALU_DEP_1)
	v_cndmask_b32_e32 v49, 0, v50, vcc_lo
.LBB4_631:
	s_wait_alu 0xfffe
	s_or_b32 exec_lo, exec_lo, s6
.LBB4_632:
	s_wait_alu 0xfffe
	s_or_b32 exec_lo, exec_lo, s3
	v_and_b32_e32 v50, 0x7f800000, v51
	v_wmma_f32_16x16x16_fp8_fp8 v[0:7], v[42:43], v[26:27], v[0:7]
	s_delay_alu instid0(VALU_DEP_2)
	v_cmp_ne_u32_e32 vcc_lo, 0x7f800000, v50
	v_bfrev_b32_e32 v50, 1
	s_and_saveexec_b32 s3, vcc_lo
	s_cbranch_execz .LBB4_640
; %bb.633:
	v_mov_b32_e32 v50, 0
	s_mov_b32 s6, exec_lo
	v_cmpx_ne_u32_e32 0, v51
	s_cbranch_execz .LBB4_639
; %bb.634:
	v_bfe_u32 v50, v51, 23, 8
	v_and_b32_e32 v54, 0x7fffff, v51
	s_delay_alu instid0(VALU_DEP_2) | instskip(SKIP_1) | instid1(VALU_DEP_3)
	v_sub_nc_u32_e32 v55, 0x78, v50
	v_cmp_gt_u32_e32 vcc_lo, 0x79, v50
	v_or_b32_e32 v56, 0x800000, v54
	s_wait_alu 0xfffd
	s_delay_alu instid0(VALU_DEP_3)
	v_cndmask_b32_e32 v55, 0, v55, vcc_lo
	v_cmp_eq_u32_e32 vcc_lo, 0, v50
	v_add_nc_u32_e32 v50, 0xffffff89, v50
	s_wait_alu 0xfffd
	v_cndmask_b32_e32 v54, v56, v54, vcc_lo
	v_cndmask_b32_e64 v55, v55, 0x77, vcc_lo
	s_delay_alu instid0(VALU_DEP_3) | instskip(NEXT) | instid1(VALU_DEP_2)
	v_cndmask_b32_e64 v50, v50, 0xffffff8a, vcc_lo
	v_lshrrev_b32_e32 v57, v55, v54
	v_lshl_add_u32 v56, 0x100000, v55, -1
	v_lshlrev_b32_e64 v59, v55, 0x80000
	s_delay_alu instid0(VALU_DEP_4) | instskip(NEXT) | instid1(VALU_DEP_4)
	v_add_nc_u32_e32 v55, v55, v50
	v_bfe_u32 v58, v57, 20, 1
	s_delay_alu instid0(VALU_DEP_4) | instskip(NEXT) | instid1(VALU_DEP_2)
	v_and_b32_e32 v54, v56, v54
	v_add_nc_u32_e32 v56, -1, v58
	s_delay_alu instid0(VALU_DEP_2) | instskip(SKIP_1) | instid1(VALU_DEP_1)
	v_cmp_eq_u32_e64 s0, v54, v59
	s_wait_alu 0xf1ff
	v_cndmask_b32_e64 v54, 0, v56, s0
	v_lshrrev_b32_e32 v56, 23, v57
	s_mov_b32 s0, exec_lo
	s_delay_alu instid0(VALU_DEP_2) | instskip(NEXT) | instid1(VALU_DEP_2)
	v_add_nc_u32_e32 v54, v54, v57
	v_xor_b32_e32 v56, 1, v56
	s_delay_alu instid0(VALU_DEP_2) | instskip(NEXT) | instid1(VALU_DEP_1)
	v_and_b32_e32 v50, 0xfffff, v54
	v_add_nc_u32_e32 v54, v50, v57
                                        ; implicit-def: $vgpr50
	s_delay_alu instid0(VALU_DEP_3)
	v_cmpx_ne_u32_e64 v55, v56
	s_wait_alu 0xfffe
	s_xor_b32 s0, exec_lo, s0
; %bb.635:
	s_delay_alu instid0(VALU_DEP_2) | instskip(SKIP_3) | instid1(VALU_DEP_2)
	v_cmp_lt_u32_e32 vcc_lo, 0xffffff, v54
	v_sub_nc_u32_e32 v50, v55, v56
	s_wait_alu 0xfffd
	v_cndmask_b32_e64 v55, 0, 1, vcc_lo
	v_add_co_ci_u32_e64 v50, null, 0, v50, vcc_lo
	s_delay_alu instid0(VALU_DEP_2)
	v_lshrrev_b32_e32 v54, v55, v54
; %bb.636:
	s_wait_alu 0xfffe
	s_and_not1_saveexec_b32 s0, s0
; %bb.637:
	s_delay_alu instid0(VALU_DEP_1)
	v_bfe_u32 v50, v54, 23, 1
; %bb.638:
	s_wait_alu 0xfffe
	s_or_b32 exec_lo, exec_lo, s0
	v_lshrrev_b32_e32 v54, 20, v54
	s_delay_alu instid0(VALU_DEP_2) | instskip(SKIP_3) | instid1(VALU_DEP_2)
	v_cmp_gt_i32_e32 vcc_lo, 16, v50
	v_lshrrev_b32_e32 v51, 24, v51
	v_min_i32_e32 v55, 15, v50
	s_wait_alu 0xfffd
	v_dual_cndmask_b32 v54, 7, v54 :: v_dual_and_b32 v51, 0x80, v51
	s_delay_alu instid0(VALU_DEP_2) | instskip(NEXT) | instid1(VALU_DEP_2)
	v_lshlrev_b32_e32 v55, 3, v55
	v_and_b32_e32 v56, 7, v54
	v_or_b32_e32 v50, v50, v54
	s_delay_alu instid0(VALU_DEP_2) | instskip(NEXT) | instid1(VALU_DEP_2)
	v_or3_b32 v51, v51, v55, v56
	v_cmp_ne_u32_e32 vcc_lo, 0, v50
	s_delay_alu instid0(VALU_DEP_2) | instskip(SKIP_1) | instid1(VALU_DEP_1)
	v_lshlrev_b32_e32 v51, 24, v51
	s_wait_alu 0xfffd
	v_cndmask_b32_e32 v50, 0, v51, vcc_lo
.LBB4_639:
	s_wait_alu 0xfffe
	s_or_b32 exec_lo, exec_lo, s6
.LBB4_640:
	s_wait_alu 0xfffe
	s_or_b32 exec_lo, exec_lo, s3
	v_or_b32_e32 v48, v48, v53
	s_mov_b32 s6, s1
	s_delay_alu instid0(VALU_DEP_1)
	v_or3_b32 v48, v49, v48, v50
	buffer_store_b32 v48, v52, s[4:7], null offen offset:68
	s_wait_dscnt 0x0
	s_barrier_signal -1
	s_barrier_wait -1
	ds_store_2addr_stride64_b32 v93, v0, v1 offset1:1
	ds_store_2addr_stride64_b32 v93, v2, v3 offset0:2 offset1:3
	ds_store_2addr_stride64_b32 v93, v4, v5 offset0:4 offset1:5
	;; [unrolled: 1-line block ×3, first 2 shown]
	s_wait_dscnt 0x0
	s_barrier_signal -1
	s_barrier_wait -1
	ds_load_b128 v[0:3], v92
	s_wait_dscnt 0x0
	v_and_b32_e32 v4, 0x7f800000, v0
	s_delay_alu instid0(VALU_DEP_1)
	v_cmp_ne_u32_e32 vcc_lo, 0x7f800000, v4
	v_mov_b32_e32 v4, 0x80
	s_and_saveexec_b32 s3, vcc_lo
	s_cbranch_execz .LBB4_648
; %bb.641:
	v_mov_b32_e32 v4, 0
	s_mov_b32 s6, exec_lo
	v_cmpx_ne_u32_e32 0, v0
	s_cbranch_execz .LBB4_647
; %bb.642:
	v_bfe_u32 v4, v0, 23, 8
	s_delay_alu instid0(VALU_DEP_1) | instskip(SKIP_2) | instid1(VALU_DEP_2)
	v_sub_nc_u32_e32 v6, 0x78, v4
	v_cmp_gt_u32_e32 vcc_lo, 0x79, v4
	s_wait_alu 0xfffd
	v_dual_cndmask_b32 v6, 0, v6 :: v_dual_and_b32 v5, 0x7fffff, v0
	s_delay_alu instid0(VALU_DEP_1) | instskip(SKIP_2) | instid1(VALU_DEP_2)
	v_or_b32_e32 v7, 0x800000, v5
	v_cmp_eq_u32_e32 vcc_lo, 0, v4
	s_wait_alu 0xfffd
	v_dual_cndmask_b32 v5, v7, v5 :: v_dual_add_nc_u32 v4, 0xffffff89, v4
	v_cndmask_b32_e64 v6, v6, 0x77, vcc_lo
	s_delay_alu instid0(VALU_DEP_2) | instskip(NEXT) | instid1(VALU_DEP_2)
	v_cndmask_b32_e64 v4, v4, 0xffffff8a, vcc_lo
	v_lshrrev_b32_e32 v48, v6, v5
	v_lshl_add_u32 v7, 0x100000, v6, -1
	v_lshlrev_b32_e64 v50, v6, 0x80000
	s_delay_alu instid0(VALU_DEP_4) | instskip(NEXT) | instid1(VALU_DEP_4)
	v_add_nc_u32_e32 v6, v6, v4
	v_bfe_u32 v49, v48, 20, 1
	s_delay_alu instid0(VALU_DEP_4) | instskip(NEXT) | instid1(VALU_DEP_2)
	v_and_b32_e32 v5, v7, v5
	v_add_nc_u32_e32 v7, -1, v49
	s_delay_alu instid0(VALU_DEP_2) | instskip(SKIP_1) | instid1(VALU_DEP_1)
	v_cmp_eq_u32_e64 s0, v5, v50
	s_wait_alu 0xf1ff
	v_cndmask_b32_e64 v5, 0, v7, s0
	v_lshrrev_b32_e32 v7, 23, v48
	s_mov_b32 s0, exec_lo
	s_delay_alu instid0(VALU_DEP_2) | instskip(NEXT) | instid1(VALU_DEP_2)
	v_add_nc_u32_e32 v5, v5, v48
	v_xor_b32_e32 v7, 1, v7
	s_delay_alu instid0(VALU_DEP_2) | instskip(NEXT) | instid1(VALU_DEP_1)
	v_and_b32_e32 v4, 0xfffff, v5
	v_add_nc_u32_e32 v5, v4, v48
                                        ; implicit-def: $vgpr4
	s_delay_alu instid0(VALU_DEP_3)
	v_cmpx_ne_u32_e64 v6, v7
	s_wait_alu 0xfffe
	s_xor_b32 s0, exec_lo, s0
; %bb.643:
	s_delay_alu instid0(VALU_DEP_2) | instskip(SKIP_3) | instid1(VALU_DEP_2)
	v_cmp_lt_u32_e32 vcc_lo, 0xffffff, v5
	v_sub_nc_u32_e32 v4, v6, v7
	s_wait_alu 0xfffd
	v_cndmask_b32_e64 v6, 0, 1, vcc_lo
	v_add_co_ci_u32_e64 v4, null, 0, v4, vcc_lo
	s_delay_alu instid0(VALU_DEP_2)
	v_lshrrev_b32_e32 v5, v6, v5
; %bb.644:
	s_wait_alu 0xfffe
	s_and_not1_saveexec_b32 s0, s0
; %bb.645:
	s_delay_alu instid0(VALU_DEP_1)
	v_bfe_u32 v4, v5, 23, 1
; %bb.646:
	s_wait_alu 0xfffe
	s_or_b32 exec_lo, exec_lo, s0
	v_lshrrev_b32_e32 v5, 20, v5
	s_delay_alu instid0(VALU_DEP_2) | instskip(SKIP_3) | instid1(VALU_DEP_2)
	v_cmp_gt_i32_e32 vcc_lo, 16, v4
	v_min_i32_e32 v6, 15, v4
	v_lshrrev_b32_e32 v0, 24, v0
	s_wait_alu 0xfffd
	v_dual_cndmask_b32 v5, 7, v5 :: v_dual_lshlrev_b32 v6, 3, v6
	s_delay_alu instid0(VALU_DEP_2) | instskip(NEXT) | instid1(VALU_DEP_2)
	v_and_b32_e32 v0, 0x80, v0
	v_or_b32_e32 v4, v4, v5
	s_delay_alu instid0(VALU_DEP_3) | instskip(NEXT) | instid1(VALU_DEP_2)
	v_and_b32_e32 v6, 0xf8, v6
	v_cmp_ne_u32_e32 vcc_lo, 0, v4
	v_and_b32_e32 v7, 7, v5
	s_delay_alu instid0(VALU_DEP_1) | instskip(SKIP_1) | instid1(VALU_DEP_1)
	v_or3_b32 v0, v6, v0, v7
	s_wait_alu 0xfffd
	v_cndmask_b32_e32 v4, 0, v0, vcc_lo
.LBB4_647:
	s_wait_alu 0xfffe
	s_or_b32 exec_lo, exec_lo, s6
.LBB4_648:
	s_wait_alu 0xfffe
	s_or_b32 exec_lo, exec_lo, s3
	v_and_b32_e32 v0, 0x7f800000, v1
	s_delay_alu instid0(VALU_DEP_1)
	v_cmp_ne_u32_e32 vcc_lo, 0x7f800000, v0
	v_mov_b32_e32 v0, 0x8000
	s_and_saveexec_b32 s3, vcc_lo
	s_cbranch_execz .LBB4_656
; %bb.649:
	v_mov_b32_e32 v0, 0
	s_mov_b32 s6, exec_lo
	v_cmpx_ne_u32_e32 0, v1
	s_cbranch_execz .LBB4_655
; %bb.650:
	v_bfe_u32 v0, v1, 23, 8
	s_delay_alu instid0(VALU_DEP_1) | instskip(SKIP_2) | instid1(VALU_DEP_2)
	v_sub_nc_u32_e32 v6, 0x78, v0
	v_cmp_gt_u32_e32 vcc_lo, 0x79, v0
	s_wait_alu 0xfffd
	v_dual_cndmask_b32 v6, 0, v6 :: v_dual_and_b32 v5, 0x7fffff, v1
	s_delay_alu instid0(VALU_DEP_1) | instskip(SKIP_2) | instid1(VALU_DEP_2)
	v_or_b32_e32 v7, 0x800000, v5
	v_cmp_eq_u32_e32 vcc_lo, 0, v0
	s_wait_alu 0xfffd
	v_dual_cndmask_b32 v5, v7, v5 :: v_dual_add_nc_u32 v0, 0xffffff89, v0
	v_cndmask_b32_e64 v6, v6, 0x77, vcc_lo
	s_delay_alu instid0(VALU_DEP_2) | instskip(NEXT) | instid1(VALU_DEP_2)
	v_cndmask_b32_e64 v0, v0, 0xffffff8a, vcc_lo
	v_lshrrev_b32_e32 v48, v6, v5
	v_lshl_add_u32 v7, 0x100000, v6, -1
	v_lshlrev_b32_e64 v50, v6, 0x80000
	s_delay_alu instid0(VALU_DEP_4) | instskip(NEXT) | instid1(VALU_DEP_4)
	v_add_nc_u32_e32 v6, v6, v0
	v_bfe_u32 v49, v48, 20, 1
	s_delay_alu instid0(VALU_DEP_4) | instskip(NEXT) | instid1(VALU_DEP_2)
	v_and_b32_e32 v5, v7, v5
	v_add_nc_u32_e32 v7, -1, v49
	s_delay_alu instid0(VALU_DEP_2) | instskip(SKIP_1) | instid1(VALU_DEP_1)
	v_cmp_eq_u32_e64 s0, v5, v50
	s_wait_alu 0xf1ff
	v_cndmask_b32_e64 v5, 0, v7, s0
	v_lshrrev_b32_e32 v7, 23, v48
	s_mov_b32 s0, exec_lo
	s_delay_alu instid0(VALU_DEP_2) | instskip(NEXT) | instid1(VALU_DEP_2)
	v_add_nc_u32_e32 v5, v5, v48
	v_xor_b32_e32 v7, 1, v7
	s_delay_alu instid0(VALU_DEP_2) | instskip(NEXT) | instid1(VALU_DEP_1)
	v_and_b32_e32 v0, 0xfffff, v5
	v_add_nc_u32_e32 v5, v0, v48
                                        ; implicit-def: $vgpr0
	s_delay_alu instid0(VALU_DEP_3)
	v_cmpx_ne_u32_e64 v6, v7
	s_wait_alu 0xfffe
	s_xor_b32 s0, exec_lo, s0
; %bb.651:
	s_delay_alu instid0(VALU_DEP_2) | instskip(SKIP_3) | instid1(VALU_DEP_2)
	v_cmp_lt_u32_e32 vcc_lo, 0xffffff, v5
	v_sub_nc_u32_e32 v0, v6, v7
	s_wait_alu 0xfffd
	v_cndmask_b32_e64 v6, 0, 1, vcc_lo
	v_add_co_ci_u32_e64 v0, null, 0, v0, vcc_lo
	s_delay_alu instid0(VALU_DEP_2)
	v_lshrrev_b32_e32 v5, v6, v5
; %bb.652:
	s_wait_alu 0xfffe
	s_and_not1_saveexec_b32 s0, s0
; %bb.653:
	s_delay_alu instid0(VALU_DEP_1)
	v_bfe_u32 v0, v5, 23, 1
; %bb.654:
	s_wait_alu 0xfffe
	s_or_b32 exec_lo, exec_lo, s0
	v_lshrrev_b32_e32 v5, 20, v5
	s_delay_alu instid0(VALU_DEP_2) | instskip(SKIP_3) | instid1(VALU_DEP_3)
	v_min_i32_e32 v6, 15, v0
	v_cmp_gt_i32_e32 vcc_lo, 16, v0
	v_lshrrev_b32_e32 v1, 24, v1
	s_wait_alu 0xfffd
	v_dual_cndmask_b32 v5, 7, v5 :: v_dual_lshlrev_b32 v6, 3, v6
	s_delay_alu instid0(VALU_DEP_2) | instskip(NEXT) | instid1(VALU_DEP_2)
	v_and_b32_e32 v1, 0x80, v1
	v_and_b32_e32 v6, 0xf8, v6
	s_delay_alu instid0(VALU_DEP_3) | instskip(SKIP_1) | instid1(VALU_DEP_2)
	v_and_b32_e32 v7, 7, v5
	v_or_b32_e32 v0, v0, v5
	v_or3_b32 v1, v1, v6, v7
	s_delay_alu instid0(VALU_DEP_2) | instskip(NEXT) | instid1(VALU_DEP_2)
	v_cmp_ne_u32_e32 vcc_lo, 0, v0
	v_lshlrev_b32_e32 v1, 8, v1
	s_wait_alu 0xfffd
	s_delay_alu instid0(VALU_DEP_1)
	v_cndmask_b32_e32 v0, 0, v1, vcc_lo
.LBB4_655:
	s_wait_alu 0xfffe
	s_or_b32 exec_lo, exec_lo, s6
.LBB4_656:
	s_wait_alu 0xfffe
	s_or_b32 exec_lo, exec_lo, s3
	v_and_b32_e32 v1, 0x7f800000, v2
	v_mov_b32_e32 v53, 0x800000
	s_mov_b32 s3, exec_lo
	s_delay_alu instid0(VALU_DEP_2)
	v_cmpx_ne_u32_e32 0x7f800000, v1
	s_cbranch_execz .LBB4_664
; %bb.657:
	v_mov_b32_e32 v53, 0
	s_mov_b32 s6, exec_lo
	v_cmpx_ne_u32_e32 0, v2
	s_cbranch_execz .LBB4_663
; %bb.658:
	v_bfe_u32 v1, v2, 23, 8
	v_and_b32_e32 v5, 0x7fffff, v2
	s_delay_alu instid0(VALU_DEP_2) | instskip(SKIP_1) | instid1(VALU_DEP_3)
	v_sub_nc_u32_e32 v6, 0x78, v1
	v_cmp_gt_u32_e32 vcc_lo, 0x79, v1
	v_or_b32_e32 v7, 0x800000, v5
	s_wait_alu 0xfffd
	s_delay_alu instid0(VALU_DEP_3)
	v_cndmask_b32_e32 v6, 0, v6, vcc_lo
	v_cmp_eq_u32_e32 vcc_lo, 0, v1
	v_add_nc_u32_e32 v1, 0xffffff89, v1
	s_wait_alu 0xfffd
	v_cndmask_b32_e32 v5, v7, v5, vcc_lo
	v_cndmask_b32_e64 v6, v6, 0x77, vcc_lo
	s_delay_alu instid0(VALU_DEP_3) | instskip(NEXT) | instid1(VALU_DEP_2)
	v_cndmask_b32_e64 v1, v1, 0xffffff8a, vcc_lo
	v_lshrrev_b32_e32 v48, v6, v5
	v_lshl_add_u32 v7, 0x100000, v6, -1
	v_lshlrev_b32_e64 v50, v6, 0x80000
	s_delay_alu instid0(VALU_DEP_4) | instskip(NEXT) | instid1(VALU_DEP_4)
	v_add_nc_u32_e32 v6, v6, v1
	v_bfe_u32 v49, v48, 20, 1
	s_delay_alu instid0(VALU_DEP_4) | instskip(NEXT) | instid1(VALU_DEP_2)
	v_and_b32_e32 v5, v7, v5
	v_add_nc_u32_e32 v7, -1, v49
	s_delay_alu instid0(VALU_DEP_2) | instskip(SKIP_1) | instid1(VALU_DEP_1)
	v_cmp_eq_u32_e64 s0, v5, v50
	s_wait_alu 0xf1ff
	v_cndmask_b32_e64 v5, 0, v7, s0
	v_lshrrev_b32_e32 v7, 23, v48
	s_mov_b32 s0, exec_lo
	s_delay_alu instid0(VALU_DEP_2) | instskip(NEXT) | instid1(VALU_DEP_2)
	v_add_nc_u32_e32 v5, v5, v48
	v_xor_b32_e32 v7, 1, v7
	s_delay_alu instid0(VALU_DEP_2) | instskip(NEXT) | instid1(VALU_DEP_1)
	v_and_b32_e32 v1, 0xfffff, v5
	v_add_nc_u32_e32 v5, v1, v48
                                        ; implicit-def: $vgpr1
	s_delay_alu instid0(VALU_DEP_3)
	v_cmpx_ne_u32_e64 v6, v7
	s_wait_alu 0xfffe
	s_xor_b32 s0, exec_lo, s0
; %bb.659:
	s_delay_alu instid0(VALU_DEP_2) | instskip(SKIP_3) | instid1(VALU_DEP_2)
	v_cmp_lt_u32_e32 vcc_lo, 0xffffff, v5
	v_sub_nc_u32_e32 v1, v6, v7
	s_wait_alu 0xfffd
	v_cndmask_b32_e64 v6, 0, 1, vcc_lo
	v_add_co_ci_u32_e64 v1, null, 0, v1, vcc_lo
	s_delay_alu instid0(VALU_DEP_2)
	v_lshrrev_b32_e32 v5, v6, v5
; %bb.660:
	s_wait_alu 0xfffe
	s_and_not1_saveexec_b32 s0, s0
; %bb.661:
	s_delay_alu instid0(VALU_DEP_1)
	v_bfe_u32 v1, v5, 23, 1
; %bb.662:
	s_wait_alu 0xfffe
	s_or_b32 exec_lo, exec_lo, s0
	v_lshrrev_b32_e32 v5, 20, v5
	s_delay_alu instid0(VALU_DEP_2) | instskip(SKIP_3) | instid1(VALU_DEP_3)
	v_min_i32_e32 v6, 15, v1
	v_cmp_gt_i32_e32 vcc_lo, 16, v1
	v_lshrrev_b32_e32 v2, 24, v2
	s_wait_alu 0xfffd
	v_dual_cndmask_b32 v5, 7, v5 :: v_dual_lshlrev_b32 v6, 3, v6
	s_delay_alu instid0(VALU_DEP_2) | instskip(NEXT) | instid1(VALU_DEP_2)
	v_and_b32_e32 v2, 0x80, v2
	v_and_b32_e32 v6, 0xf8, v6
	s_delay_alu instid0(VALU_DEP_3) | instskip(SKIP_1) | instid1(VALU_DEP_2)
	v_and_b32_e32 v7, 7, v5
	v_or_b32_e32 v1, v1, v5
	v_or3_b32 v2, v2, v6, v7
	s_delay_alu instid0(VALU_DEP_2) | instskip(NEXT) | instid1(VALU_DEP_2)
	v_cmp_ne_u32_e32 vcc_lo, 0, v1
	v_lshlrev_b32_e32 v2, 16, v2
	s_wait_alu 0xfffd
	s_delay_alu instid0(VALU_DEP_1)
	v_cndmask_b32_e32 v53, 0, v2, vcc_lo
.LBB4_663:
	s_wait_alu 0xfffe
	s_or_b32 exec_lo, exec_lo, s6
.LBB4_664:
	s_wait_alu 0xfffe
	s_or_b32 exec_lo, exec_lo, s3
	v_and_b32_e32 v1, 0x7f800000, v3
	v_add_nc_u32_e32 v54, 64, v52
	v_bfrev_b32_e32 v55, 1
	s_mov_b32 s3, exec_lo
	s_delay_alu instid0(VALU_DEP_3)
	v_cmpx_ne_u32_e32 0x7f800000, v1
	s_cbranch_execz .LBB4_672
; %bb.665:
	v_mov_b32_e32 v55, 0
	s_mov_b32 s6, exec_lo
	v_cmpx_ne_u32_e32 0, v3
	s_cbranch_execz .LBB4_671
; %bb.666:
	v_bfe_u32 v1, v3, 23, 8
	s_delay_alu instid0(VALU_DEP_1) | instskip(SKIP_2) | instid1(VALU_DEP_2)
	v_sub_nc_u32_e32 v5, 0x78, v1
	v_cmp_gt_u32_e32 vcc_lo, 0x79, v1
	s_wait_alu 0xfffd
	v_dual_cndmask_b32 v5, 0, v5 :: v_dual_and_b32 v2, 0x7fffff, v3
	s_delay_alu instid0(VALU_DEP_1) | instskip(SKIP_2) | instid1(VALU_DEP_2)
	v_or_b32_e32 v6, 0x800000, v2
	v_cmp_eq_u32_e32 vcc_lo, 0, v1
	s_wait_alu 0xfffd
	v_dual_cndmask_b32 v2, v6, v2 :: v_dual_add_nc_u32 v1, 0xffffff89, v1
	v_cndmask_b32_e64 v5, v5, 0x77, vcc_lo
	s_delay_alu instid0(VALU_DEP_2) | instskip(NEXT) | instid1(VALU_DEP_2)
	v_cndmask_b32_e64 v1, v1, 0xffffff8a, vcc_lo
	v_lshrrev_b32_e32 v7, v5, v2
	v_lshl_add_u32 v6, 0x100000, v5, -1
	v_lshlrev_b32_e64 v49, v5, 0x80000
	s_delay_alu instid0(VALU_DEP_4) | instskip(NEXT) | instid1(VALU_DEP_4)
	v_add_nc_u32_e32 v5, v5, v1
	v_bfe_u32 v48, v7, 20, 1
	s_delay_alu instid0(VALU_DEP_4) | instskip(NEXT) | instid1(VALU_DEP_2)
	v_and_b32_e32 v2, v6, v2
	v_add_nc_u32_e32 v6, -1, v48
	s_delay_alu instid0(VALU_DEP_2) | instskip(SKIP_1) | instid1(VALU_DEP_1)
	v_cmp_eq_u32_e64 s0, v2, v49
	s_wait_alu 0xf1ff
	v_cndmask_b32_e64 v2, 0, v6, s0
	v_lshrrev_b32_e32 v6, 23, v7
	s_mov_b32 s0, exec_lo
	s_delay_alu instid0(VALU_DEP_2) | instskip(NEXT) | instid1(VALU_DEP_2)
	v_add_nc_u32_e32 v2, v2, v7
	v_xor_b32_e32 v6, 1, v6
	s_delay_alu instid0(VALU_DEP_2) | instskip(NEXT) | instid1(VALU_DEP_1)
	v_and_b32_e32 v1, 0xfffff, v2
	v_add_nc_u32_e32 v2, v1, v7
                                        ; implicit-def: $vgpr1
	s_delay_alu instid0(VALU_DEP_3)
	v_cmpx_ne_u32_e64 v5, v6
	s_wait_alu 0xfffe
	s_xor_b32 s0, exec_lo, s0
; %bb.667:
	s_delay_alu instid0(VALU_DEP_2) | instskip(SKIP_3) | instid1(VALU_DEP_2)
	v_cmp_lt_u32_e32 vcc_lo, 0xffffff, v2
	v_sub_nc_u32_e32 v1, v5, v6
	s_wait_alu 0xfffd
	v_cndmask_b32_e64 v5, 0, 1, vcc_lo
	v_add_co_ci_u32_e64 v1, null, 0, v1, vcc_lo
	s_delay_alu instid0(VALU_DEP_2)
	v_lshrrev_b32_e32 v2, v5, v2
; %bb.668:
	s_wait_alu 0xfffe
	s_and_not1_saveexec_b32 s0, s0
; %bb.669:
	s_delay_alu instid0(VALU_DEP_1)
	v_bfe_u32 v1, v2, 23, 1
; %bb.670:
	s_wait_alu 0xfffe
	s_or_b32 exec_lo, exec_lo, s0
	v_lshrrev_b32_e32 v2, 20, v2
	s_delay_alu instid0(VALU_DEP_2) | instskip(SKIP_3) | instid1(VALU_DEP_2)
	v_cmp_gt_i32_e32 vcc_lo, 16, v1
	v_lshrrev_b32_e32 v3, 24, v3
	v_min_i32_e32 v5, 15, v1
	s_wait_alu 0xfffd
	v_dual_cndmask_b32 v2, 7, v2 :: v_dual_and_b32 v3, 0x80, v3
	s_delay_alu instid0(VALU_DEP_2) | instskip(NEXT) | instid1(VALU_DEP_2)
	v_lshlrev_b32_e32 v5, 3, v5
	v_and_b32_e32 v6, 7, v2
	v_or_b32_e32 v1, v1, v2
	s_delay_alu instid0(VALU_DEP_2) | instskip(NEXT) | instid1(VALU_DEP_2)
	v_or3_b32 v3, v3, v5, v6
	v_cmp_ne_u32_e32 vcc_lo, 0, v1
	s_delay_alu instid0(VALU_DEP_2) | instskip(SKIP_1) | instid1(VALU_DEP_1)
	v_lshlrev_b32_e32 v2, 24, v3
	s_wait_alu 0xfffd
	v_cndmask_b32_e32 v55, 0, v2, vcc_lo
.LBB4_671:
	s_wait_alu 0xfffe
	s_or_b32 exec_lo, exec_lo, s6
.LBB4_672:
	s_wait_alu 0xfffe
	s_or_b32 exec_lo, exec_lo, s3
	ds_load_b128 v[48:51], v92 offset:16
	v_or_b32_e32 v56, v0, v4
	v_wmma_f32_16x16x16_fp8_fp8 v[0:7], v[44:45], v[16:17], 0
	v_dual_mov_b32 v45, 0x80 :: v_dual_add_nc_u32 v44, s2, v54
	s_delay_alu instid0(VALU_DEP_3)
	v_or3_b32 v53, v53, v56, v55
	s_mov_b32 s6, s1
	s_mov_b32 s3, exec_lo
	buffer_store_b32 v53, v44, s[4:7], null offen
	s_wait_dscnt 0x0
	v_and_b32_e32 v57, 0x7f800000, v48
	s_delay_alu instid0(VALU_DEP_1)
	v_cmpx_ne_u32_e32 0x7f800000, v57
	s_cbranch_execz .LBB4_680
; %bb.673:
	v_mov_b32_e32 v45, 0
	s_mov_b32 s6, exec_lo
	v_cmpx_ne_u32_e32 0, v48
	s_cbranch_execz .LBB4_679
; %bb.674:
	v_bfe_u32 v45, v48, 23, 8
	s_delay_alu instid0(VALU_DEP_1) | instskip(SKIP_2) | instid1(VALU_DEP_2)
	v_sub_nc_u32_e32 v54, 0x78, v45
	v_cmp_gt_u32_e32 vcc_lo, 0x79, v45
	s_wait_alu 0xfffd
	v_dual_cndmask_b32 v54, 0, v54 :: v_dual_and_b32 v53, 0x7fffff, v48
	s_delay_alu instid0(VALU_DEP_1)
	v_or_b32_e32 v55, 0x800000, v53
	v_cmp_eq_u32_e32 vcc_lo, 0, v45
	v_add_nc_u32_e32 v45, 0xffffff89, v45
	s_wait_alu 0xfffd
	v_cndmask_b32_e64 v54, v54, 0x77, vcc_lo
	v_cndmask_b32_e32 v53, v55, v53, vcc_lo
	s_delay_alu instid0(VALU_DEP_3) | instskip(NEXT) | instid1(VALU_DEP_3)
	v_cndmask_b32_e64 v45, v45, 0xffffff8a, vcc_lo
	v_lshl_add_u32 v55, 0x100000, v54, -1
	s_delay_alu instid0(VALU_DEP_3) | instskip(SKIP_1) | instid1(VALU_DEP_4)
	v_lshrrev_b32_e32 v56, v54, v53
	v_lshlrev_b32_e64 v58, v54, 0x80000
	v_add_nc_u32_e32 v54, v54, v45
	s_delay_alu instid0(VALU_DEP_4) | instskip(NEXT) | instid1(VALU_DEP_4)
	v_and_b32_e32 v53, v55, v53
	v_bfe_u32 v57, v56, 20, 1
	s_delay_alu instid0(VALU_DEP_2) | instskip(NEXT) | instid1(VALU_DEP_2)
	v_cmp_eq_u32_e64 s0, v53, v58
	v_add_nc_u32_e32 v55, -1, v57
	s_wait_alu 0xf1ff
	s_delay_alu instid0(VALU_DEP_1) | instskip(SKIP_2) | instid1(VALU_DEP_2)
	v_cndmask_b32_e64 v53, 0, v55, s0
	v_lshrrev_b32_e32 v55, 23, v56
	s_mov_b32 s0, exec_lo
	v_add_nc_u32_e32 v53, v53, v56
	s_delay_alu instid0(VALU_DEP_2) | instskip(NEXT) | instid1(VALU_DEP_2)
	v_xor_b32_e32 v55, 1, v55
	v_and_b32_e32 v45, 0xfffff, v53
	s_delay_alu instid0(VALU_DEP_1) | instskip(NEXT) | instid1(VALU_DEP_3)
	v_add_nc_u32_e32 v53, v45, v56
                                        ; implicit-def: $vgpr45
	v_cmpx_ne_u32_e64 v54, v55
	s_wait_alu 0xfffe
	s_xor_b32 s0, exec_lo, s0
; %bb.675:
	s_delay_alu instid0(VALU_DEP_2) | instskip(SKIP_3) | instid1(VALU_DEP_2)
	v_cmp_lt_u32_e32 vcc_lo, 0xffffff, v53
	v_sub_nc_u32_e32 v45, v54, v55
	s_wait_alu 0xfffd
	v_cndmask_b32_e64 v54, 0, 1, vcc_lo
	v_add_co_ci_u32_e64 v45, null, 0, v45, vcc_lo
	s_delay_alu instid0(VALU_DEP_2)
	v_lshrrev_b32_e32 v53, v54, v53
; %bb.676:
	s_wait_alu 0xfffe
	s_and_not1_saveexec_b32 s0, s0
; %bb.677:
	s_delay_alu instid0(VALU_DEP_1)
	v_bfe_u32 v45, v53, 23, 1
; %bb.678:
	s_wait_alu 0xfffe
	s_or_b32 exec_lo, exec_lo, s0
	v_lshrrev_b32_e32 v53, 20, v53
	s_delay_alu instid0(VALU_DEP_2) | instskip(SKIP_3) | instid1(VALU_DEP_2)
	v_cmp_gt_i32_e32 vcc_lo, 16, v45
	v_min_i32_e32 v54, 15, v45
	v_lshrrev_b32_e32 v48, 24, v48
	s_wait_alu 0xfffd
	v_dual_cndmask_b32 v53, 7, v53 :: v_dual_lshlrev_b32 v54, 3, v54
	s_delay_alu instid0(VALU_DEP_2) | instskip(NEXT) | instid1(VALU_DEP_2)
	v_and_b32_e32 v48, 0x80, v48
	v_or_b32_e32 v45, v45, v53
	v_and_b32_e32 v55, 7, v53
	s_delay_alu instid0(VALU_DEP_2) | instskip(SKIP_1) | instid1(VALU_DEP_1)
	v_cmp_ne_u32_e32 vcc_lo, 0, v45
	v_and_b32_e32 v54, 0xf8, v54
	v_or3_b32 v48, v54, v48, v55
	s_wait_alu 0xfffd
	s_delay_alu instid0(VALU_DEP_1)
	v_cndmask_b32_e32 v45, 0, v48, vcc_lo
.LBB4_679:
	s_wait_alu 0xfffe
	s_or_b32 exec_lo, exec_lo, s6
.LBB4_680:
	s_delay_alu instid0(SALU_CYCLE_1) | instskip(SKIP_4) | instid1(VALU_DEP_3)
	s_or_b32 exec_lo, exec_lo, s3
	v_and_b32_e32 v48, 0x7f800000, v49
	v_wmma_f32_16x16x16_fp8_fp8 v[0:7], v[46:47], v[18:19], v[0:7]
	v_mov_b32_e32 v46, 0x8000
	s_mov_b32 s3, exec_lo
	v_cmpx_ne_u32_e32 0x7f800000, v48
	s_cbranch_execz .LBB4_688
; %bb.681:
	v_mov_b32_e32 v46, 0
	s_mov_b32 s6, exec_lo
	v_cmpx_ne_u32_e32 0, v49
	s_cbranch_execz .LBB4_687
; %bb.682:
	v_bfe_u32 v46, v49, 23, 8
	s_delay_alu instid0(VALU_DEP_1) | instskip(SKIP_2) | instid1(VALU_DEP_2)
	v_sub_nc_u32_e32 v48, 0x78, v46
	v_cmp_gt_u32_e32 vcc_lo, 0x79, v46
	s_wait_alu 0xfffd
	v_dual_cndmask_b32 v48, 0, v48 :: v_dual_and_b32 v47, 0x7fffff, v49
	s_delay_alu instid0(VALU_DEP_1) | instskip(SKIP_2) | instid1(VALU_DEP_2)
	v_or_b32_e32 v53, 0x800000, v47
	v_cmp_eq_u32_e32 vcc_lo, 0, v46
	s_wait_alu 0xfffd
	v_dual_cndmask_b32 v47, v53, v47 :: v_dual_add_nc_u32 v46, 0xffffff89, v46
	v_cndmask_b32_e64 v48, v48, 0x77, vcc_lo
	s_delay_alu instid0(VALU_DEP_2) | instskip(NEXT) | instid1(VALU_DEP_2)
	v_cndmask_b32_e64 v46, v46, 0xffffff8a, vcc_lo
	v_lshrrev_b32_e32 v54, v48, v47
	v_lshl_add_u32 v53, 0x100000, v48, -1
	v_lshlrev_b32_e64 v56, v48, 0x80000
	s_delay_alu instid0(VALU_DEP_4) | instskip(NEXT) | instid1(VALU_DEP_4)
	v_add_nc_u32_e32 v48, v48, v46
	v_bfe_u32 v55, v54, 20, 1
	s_delay_alu instid0(VALU_DEP_4) | instskip(NEXT) | instid1(VALU_DEP_2)
	v_and_b32_e32 v47, v53, v47
	v_add_nc_u32_e32 v53, -1, v55
	s_delay_alu instid0(VALU_DEP_2) | instskip(SKIP_1) | instid1(VALU_DEP_1)
	v_cmp_eq_u32_e64 s0, v47, v56
	s_wait_alu 0xf1ff
	v_cndmask_b32_e64 v47, 0, v53, s0
	v_lshrrev_b32_e32 v53, 23, v54
	s_mov_b32 s0, exec_lo
	s_delay_alu instid0(VALU_DEP_2) | instskip(NEXT) | instid1(VALU_DEP_2)
	v_add_nc_u32_e32 v47, v47, v54
	v_xor_b32_e32 v53, 1, v53
	s_delay_alu instid0(VALU_DEP_2) | instskip(NEXT) | instid1(VALU_DEP_1)
	v_and_b32_e32 v46, 0xfffff, v47
	v_add_nc_u32_e32 v47, v46, v54
                                        ; implicit-def: $vgpr46
	s_delay_alu instid0(VALU_DEP_3)
	v_cmpx_ne_u32_e64 v48, v53
	s_wait_alu 0xfffe
	s_xor_b32 s0, exec_lo, s0
; %bb.683:
	s_delay_alu instid0(VALU_DEP_2) | instskip(SKIP_3) | instid1(VALU_DEP_2)
	v_cmp_lt_u32_e32 vcc_lo, 0xffffff, v47
	v_sub_nc_u32_e32 v46, v48, v53
	s_wait_alu 0xfffd
	v_cndmask_b32_e64 v48, 0, 1, vcc_lo
	v_add_co_ci_u32_e64 v46, null, 0, v46, vcc_lo
	s_delay_alu instid0(VALU_DEP_2)
	v_lshrrev_b32_e32 v47, v48, v47
; %bb.684:
	s_wait_alu 0xfffe
	s_and_not1_saveexec_b32 s0, s0
; %bb.685:
	s_delay_alu instid0(VALU_DEP_1)
	v_bfe_u32 v46, v47, 23, 1
; %bb.686:
	s_wait_alu 0xfffe
	s_or_b32 exec_lo, exec_lo, s0
	v_lshrrev_b32_e32 v47, 20, v47
	s_delay_alu instid0(VALU_DEP_2) | instskip(SKIP_3) | instid1(VALU_DEP_2)
	v_cmp_gt_i32_e32 vcc_lo, 16, v46
	v_min_i32_e32 v48, 15, v46
	v_lshrrev_b32_e32 v49, 24, v49
	s_wait_alu 0xfffd
	v_dual_cndmask_b32 v47, 7, v47 :: v_dual_lshlrev_b32 v48, 3, v48
	s_delay_alu instid0(VALU_DEP_1) | instskip(SKIP_1) | instid1(VALU_DEP_3)
	v_or_b32_e32 v46, v46, v47
	v_and_b32_e32 v53, 7, v47
	v_and_b32_e32 v48, 0xf8, v48
	s_delay_alu instid0(VALU_DEP_3) | instskip(SKIP_1) | instid1(VALU_DEP_1)
	v_cmp_ne_u32_e32 vcc_lo, 0, v46
	v_and_b32_e32 v49, 0x80, v49
	v_or3_b32 v48, v49, v48, v53
	s_delay_alu instid0(VALU_DEP_1) | instskip(SKIP_1) | instid1(VALU_DEP_1)
	v_lshlrev_b32_e32 v47, 8, v48
	s_wait_alu 0xfffd
	v_cndmask_b32_e32 v46, 0, v47, vcc_lo
.LBB4_687:
	s_wait_alu 0xfffe
	s_or_b32 exec_lo, exec_lo, s6
.LBB4_688:
	s_wait_alu 0xfffe
	s_or_b32 exec_lo, exec_lo, s3
	v_and_b32_e32 v47, 0x7f800000, v50
	v_wmma_f32_16x16x16_fp8_fp8 v[0:7], v[40:41], v[8:9], v[0:7]
	v_mov_b32_e32 v40, 0x800000
	s_mov_b32 s3, exec_lo
	s_delay_alu instid0(VALU_DEP_3)
	v_cmpx_ne_u32_e32 0x7f800000, v47
	s_cbranch_execz .LBB4_696
; %bb.689:
	v_mov_b32_e32 v40, 0
	s_mov_b32 s6, exec_lo
	v_cmpx_ne_u32_e32 0, v50
	s_cbranch_execz .LBB4_695
; %bb.690:
	v_bfe_u32 v40, v50, 23, 8
	v_and_b32_e32 v41, 0x7fffff, v50
	s_delay_alu instid0(VALU_DEP_2) | instskip(SKIP_1) | instid1(VALU_DEP_3)
	v_sub_nc_u32_e32 v47, 0x78, v40
	v_cmp_gt_u32_e32 vcc_lo, 0x79, v40
	v_or_b32_e32 v48, 0x800000, v41
	s_wait_alu 0xfffd
	s_delay_alu instid0(VALU_DEP_3) | instskip(SKIP_3) | instid1(VALU_DEP_3)
	v_cndmask_b32_e32 v47, 0, v47, vcc_lo
	v_cmp_eq_u32_e32 vcc_lo, 0, v40
	s_wait_alu 0xfffd
	v_dual_cndmask_b32 v41, v48, v41 :: v_dual_add_nc_u32 v40, 0xffffff89, v40
	v_cndmask_b32_e64 v47, v47, 0x77, vcc_lo
	s_delay_alu instid0(VALU_DEP_2) | instskip(NEXT) | instid1(VALU_DEP_2)
	v_cndmask_b32_e64 v40, v40, 0xffffff8a, vcc_lo
	v_lshrrev_b32_e32 v49, v47, v41
	v_lshl_add_u32 v48, 0x100000, v47, -1
	v_lshlrev_b32_e64 v54, v47, 0x80000
	s_delay_alu instid0(VALU_DEP_4) | instskip(NEXT) | instid1(VALU_DEP_4)
	v_add_nc_u32_e32 v47, v47, v40
	v_bfe_u32 v53, v49, 20, 1
	s_delay_alu instid0(VALU_DEP_4) | instskip(NEXT) | instid1(VALU_DEP_2)
	v_and_b32_e32 v41, v48, v41
	v_add_nc_u32_e32 v48, -1, v53
	s_delay_alu instid0(VALU_DEP_2) | instskip(SKIP_1) | instid1(VALU_DEP_1)
	v_cmp_eq_u32_e64 s0, v41, v54
	s_wait_alu 0xf1ff
	v_cndmask_b32_e64 v41, 0, v48, s0
	v_lshrrev_b32_e32 v48, 23, v49
	s_mov_b32 s0, exec_lo
	s_delay_alu instid0(VALU_DEP_2) | instskip(NEXT) | instid1(VALU_DEP_2)
	v_add_nc_u32_e32 v41, v41, v49
	v_xor_b32_e32 v48, 1, v48
	s_delay_alu instid0(VALU_DEP_2) | instskip(NEXT) | instid1(VALU_DEP_1)
	v_and_b32_e32 v40, 0xfffff, v41
	v_add_nc_u32_e32 v41, v40, v49
                                        ; implicit-def: $vgpr40
	s_delay_alu instid0(VALU_DEP_3)
	v_cmpx_ne_u32_e64 v47, v48
	s_wait_alu 0xfffe
	s_xor_b32 s0, exec_lo, s0
; %bb.691:
	s_delay_alu instid0(VALU_DEP_2) | instskip(SKIP_3) | instid1(VALU_DEP_2)
	v_cmp_lt_u32_e32 vcc_lo, 0xffffff, v41
	v_sub_nc_u32_e32 v40, v47, v48
	s_wait_alu 0xfffd
	v_cndmask_b32_e64 v47, 0, 1, vcc_lo
	v_add_co_ci_u32_e64 v40, null, 0, v40, vcc_lo
	s_delay_alu instid0(VALU_DEP_2)
	v_lshrrev_b32_e32 v41, v47, v41
; %bb.692:
	s_wait_alu 0xfffe
	s_and_not1_saveexec_b32 s0, s0
; %bb.693:
	s_delay_alu instid0(VALU_DEP_1)
	v_bfe_u32 v40, v41, 23, 1
; %bb.694:
	s_wait_alu 0xfffe
	s_or_b32 exec_lo, exec_lo, s0
	v_lshrrev_b32_e32 v41, 20, v41
	s_delay_alu instid0(VALU_DEP_2) | instskip(SKIP_3) | instid1(VALU_DEP_2)
	v_cmp_gt_i32_e32 vcc_lo, 16, v40
	v_lshrrev_b32_e32 v48, 24, v50
	v_min_i32_e32 v47, 15, v40
	s_wait_alu 0xfffd
	v_dual_cndmask_b32 v41, 7, v41 :: v_dual_and_b32 v48, 0x80, v48
	s_delay_alu instid0(VALU_DEP_1) | instskip(SKIP_1) | instid1(VALU_DEP_2)
	v_or_b32_e32 v40, v40, v41
	v_and_b32_e32 v49, 7, v41
	v_cmp_ne_u32_e32 vcc_lo, 0, v40
	v_lshlrev_b32_e32 v47, 3, v47
	s_delay_alu instid0(VALU_DEP_1) | instskip(NEXT) | instid1(VALU_DEP_1)
	v_and_b32_e32 v47, 0xf8, v47
	v_or3_b32 v47, v48, v47, v49
	s_delay_alu instid0(VALU_DEP_1) | instskip(SKIP_1) | instid1(VALU_DEP_1)
	v_lshlrev_b32_e32 v41, 16, v47
	s_wait_alu 0xfffd
	v_cndmask_b32_e32 v40, 0, v41, vcc_lo
.LBB4_695:
	s_wait_alu 0xfffe
	s_or_b32 exec_lo, exec_lo, s6
.LBB4_696:
	s_wait_alu 0xfffe
	s_or_b32 exec_lo, exec_lo, s3
	v_and_b32_e32 v41, 0x7f800000, v51
	v_wmma_f32_16x16x16_fp8_fp8 v[0:7], v[42:43], v[10:11], v[0:7]
	s_delay_alu instid0(VALU_DEP_2)
	v_cmp_ne_u32_e32 vcc_lo, 0x7f800000, v41
	v_bfrev_b32_e32 v41, 1
	s_and_saveexec_b32 s3, vcc_lo
	s_cbranch_execz .LBB4_704
; %bb.697:
	v_mov_b32_e32 v41, 0
	s_mov_b32 s6, exec_lo
	v_cmpx_ne_u32_e32 0, v51
	s_cbranch_execz .LBB4_703
; %bb.698:
	v_bfe_u32 v41, v51, 23, 8
	v_and_b32_e32 v42, 0x7fffff, v51
	s_delay_alu instid0(VALU_DEP_2) | instskip(SKIP_1) | instid1(VALU_DEP_3)
	v_sub_nc_u32_e32 v43, 0x78, v41
	v_cmp_gt_u32_e32 vcc_lo, 0x79, v41
	v_or_b32_e32 v47, 0x800000, v42
	s_wait_alu 0xfffd
	s_delay_alu instid0(VALU_DEP_3) | instskip(SKIP_3) | instid1(VALU_DEP_3)
	v_cndmask_b32_e32 v43, 0, v43, vcc_lo
	v_cmp_eq_u32_e32 vcc_lo, 0, v41
	s_wait_alu 0xfffd
	v_dual_cndmask_b32 v42, v47, v42 :: v_dual_add_nc_u32 v41, 0xffffff89, v41
	v_cndmask_b32_e64 v43, v43, 0x77, vcc_lo
	s_delay_alu instid0(VALU_DEP_2) | instskip(NEXT) | instid1(VALU_DEP_2)
	v_cndmask_b32_e64 v41, v41, 0xffffff8a, vcc_lo
	v_lshrrev_b32_e32 v48, v43, v42
	v_lshl_add_u32 v47, 0x100000, v43, -1
	v_lshlrev_b32_e64 v50, v43, 0x80000
	s_delay_alu instid0(VALU_DEP_4) | instskip(NEXT) | instid1(VALU_DEP_4)
	v_add_nc_u32_e32 v43, v43, v41
	v_bfe_u32 v49, v48, 20, 1
	s_delay_alu instid0(VALU_DEP_4) | instskip(NEXT) | instid1(VALU_DEP_2)
	v_and_b32_e32 v42, v47, v42
	v_add_nc_u32_e32 v47, -1, v49
	s_delay_alu instid0(VALU_DEP_2) | instskip(SKIP_1) | instid1(VALU_DEP_1)
	v_cmp_eq_u32_e64 s0, v42, v50
	s_wait_alu 0xf1ff
	v_cndmask_b32_e64 v42, 0, v47, s0
	v_lshrrev_b32_e32 v47, 23, v48
	s_mov_b32 s0, exec_lo
	s_delay_alu instid0(VALU_DEP_2) | instskip(NEXT) | instid1(VALU_DEP_2)
	v_add_nc_u32_e32 v42, v42, v48
	v_xor_b32_e32 v47, 1, v47
	s_delay_alu instid0(VALU_DEP_2) | instskip(NEXT) | instid1(VALU_DEP_1)
	v_and_b32_e32 v41, 0xfffff, v42
	v_add_nc_u32_e32 v42, v41, v48
                                        ; implicit-def: $vgpr41
	s_delay_alu instid0(VALU_DEP_3)
	v_cmpx_ne_u32_e64 v43, v47
	s_wait_alu 0xfffe
	s_xor_b32 s0, exec_lo, s0
; %bb.699:
	s_delay_alu instid0(VALU_DEP_2) | instskip(SKIP_3) | instid1(VALU_DEP_2)
	v_cmp_lt_u32_e32 vcc_lo, 0xffffff, v42
	v_sub_nc_u32_e32 v41, v43, v47
	s_wait_alu 0xfffd
	v_cndmask_b32_e64 v43, 0, 1, vcc_lo
	v_add_co_ci_u32_e64 v41, null, 0, v41, vcc_lo
	s_delay_alu instid0(VALU_DEP_2)
	v_lshrrev_b32_e32 v42, v43, v42
; %bb.700:
	s_wait_alu 0xfffe
	s_and_not1_saveexec_b32 s0, s0
; %bb.701:
	s_delay_alu instid0(VALU_DEP_1)
	v_bfe_u32 v41, v42, 23, 1
; %bb.702:
	s_wait_alu 0xfffe
	s_or_b32 exec_lo, exec_lo, s0
	v_lshrrev_b32_e32 v42, 20, v42
	s_delay_alu instid0(VALU_DEP_2) | instskip(SKIP_3) | instid1(VALU_DEP_2)
	v_cmp_gt_i32_e32 vcc_lo, 16, v41
	v_lshrrev_b32_e32 v43, 24, v51
	v_min_i32_e32 v47, 15, v41
	s_wait_alu 0xfffd
	v_dual_cndmask_b32 v42, 7, v42 :: v_dual_and_b32 v43, 0x80, v43
	s_delay_alu instid0(VALU_DEP_2) | instskip(NEXT) | instid1(VALU_DEP_2)
	v_lshlrev_b32_e32 v47, 3, v47
	v_and_b32_e32 v48, 7, v42
	v_or_b32_e32 v41, v41, v42
	s_delay_alu instid0(VALU_DEP_2) | instskip(NEXT) | instid1(VALU_DEP_2)
	v_or3_b32 v43, v43, v47, v48
	v_cmp_ne_u32_e32 vcc_lo, 0, v41
	s_delay_alu instid0(VALU_DEP_2) | instskip(SKIP_1) | instid1(VALU_DEP_1)
	v_lshlrev_b32_e32 v42, 24, v43
	s_wait_alu 0xfffd
	v_cndmask_b32_e32 v41, 0, v42, vcc_lo
.LBB4_703:
	s_wait_alu 0xfffe
	s_or_b32 exec_lo, exec_lo, s6
.LBB4_704:
	s_wait_alu 0xfffe
	s_or_b32 exec_lo, exec_lo, s3
	v_or_b32_e32 v42, v46, v45
	s_mov_b32 s6, s1
	s_delay_alu instid0(VALU_DEP_1)
	v_or3_b32 v40, v40, v42, v41
	buffer_store_b32 v40, v44, s[4:7], null offen offset:4
	s_wait_dscnt 0x0
	s_barrier_signal -1
	s_barrier_wait -1
	ds_store_2addr_stride64_b32 v93, v0, v1 offset1:1
	ds_store_2addr_stride64_b32 v93, v2, v3 offset0:2 offset1:3
	ds_store_2addr_stride64_b32 v93, v4, v5 offset0:4 offset1:5
	;; [unrolled: 1-line block ×3, first 2 shown]
	s_wait_dscnt 0x0
	s_barrier_signal -1
	s_barrier_wait -1
	ds_load_b128 v[0:3], v92
	s_wait_dscnt 0x0
	v_and_b32_e32 v4, 0x7f800000, v0
	s_delay_alu instid0(VALU_DEP_1)
	v_cmp_ne_u32_e32 vcc_lo, 0x7f800000, v4
	v_mov_b32_e32 v4, 0x80
	s_and_saveexec_b32 s3, vcc_lo
	s_cbranch_execz .LBB4_712
; %bb.705:
	v_mov_b32_e32 v4, 0
	s_mov_b32 s6, exec_lo
	v_cmpx_ne_u32_e32 0, v0
	s_cbranch_execz .LBB4_711
; %bb.706:
	v_bfe_u32 v4, v0, 23, 8
	s_delay_alu instid0(VALU_DEP_1) | instskip(SKIP_2) | instid1(VALU_DEP_2)
	v_sub_nc_u32_e32 v6, 0x78, v4
	v_cmp_gt_u32_e32 vcc_lo, 0x79, v4
	s_wait_alu 0xfffd
	v_dual_cndmask_b32 v6, 0, v6 :: v_dual_and_b32 v5, 0x7fffff, v0
	s_delay_alu instid0(VALU_DEP_1) | instskip(SKIP_2) | instid1(VALU_DEP_2)
	v_or_b32_e32 v7, 0x800000, v5
	v_cmp_eq_u32_e32 vcc_lo, 0, v4
	s_wait_alu 0xfffd
	v_dual_cndmask_b32 v5, v7, v5 :: v_dual_add_nc_u32 v4, 0xffffff89, v4
	v_cndmask_b32_e64 v6, v6, 0x77, vcc_lo
	s_delay_alu instid0(VALU_DEP_2) | instskip(NEXT) | instid1(VALU_DEP_2)
	v_cndmask_b32_e64 v4, v4, 0xffffff8a, vcc_lo
	v_lshrrev_b32_e32 v40, v6, v5
	v_lshl_add_u32 v7, 0x100000, v6, -1
	v_lshlrev_b32_e64 v42, v6, 0x80000
	s_delay_alu instid0(VALU_DEP_4) | instskip(NEXT) | instid1(VALU_DEP_4)
	v_add_nc_u32_e32 v6, v6, v4
	v_bfe_u32 v41, v40, 20, 1
	s_delay_alu instid0(VALU_DEP_4) | instskip(NEXT) | instid1(VALU_DEP_2)
	v_and_b32_e32 v5, v7, v5
	v_add_nc_u32_e32 v7, -1, v41
	s_delay_alu instid0(VALU_DEP_2) | instskip(SKIP_1) | instid1(VALU_DEP_1)
	v_cmp_eq_u32_e64 s0, v5, v42
	s_wait_alu 0xf1ff
	v_cndmask_b32_e64 v5, 0, v7, s0
	v_lshrrev_b32_e32 v7, 23, v40
	s_mov_b32 s0, exec_lo
	s_delay_alu instid0(VALU_DEP_2) | instskip(NEXT) | instid1(VALU_DEP_2)
	v_add_nc_u32_e32 v5, v5, v40
	v_xor_b32_e32 v7, 1, v7
	s_delay_alu instid0(VALU_DEP_2) | instskip(NEXT) | instid1(VALU_DEP_1)
	v_and_b32_e32 v4, 0xfffff, v5
	v_add_nc_u32_e32 v5, v4, v40
                                        ; implicit-def: $vgpr4
	s_delay_alu instid0(VALU_DEP_3)
	v_cmpx_ne_u32_e64 v6, v7
	s_wait_alu 0xfffe
	s_xor_b32 s0, exec_lo, s0
; %bb.707:
	s_delay_alu instid0(VALU_DEP_2) | instskip(SKIP_3) | instid1(VALU_DEP_2)
	v_cmp_lt_u32_e32 vcc_lo, 0xffffff, v5
	v_sub_nc_u32_e32 v4, v6, v7
	s_wait_alu 0xfffd
	v_cndmask_b32_e64 v6, 0, 1, vcc_lo
	v_add_co_ci_u32_e64 v4, null, 0, v4, vcc_lo
	s_delay_alu instid0(VALU_DEP_2)
	v_lshrrev_b32_e32 v5, v6, v5
; %bb.708:
	s_wait_alu 0xfffe
	s_and_not1_saveexec_b32 s0, s0
; %bb.709:
	s_delay_alu instid0(VALU_DEP_1)
	v_bfe_u32 v4, v5, 23, 1
; %bb.710:
	s_wait_alu 0xfffe
	s_or_b32 exec_lo, exec_lo, s0
	v_lshrrev_b32_e32 v5, 20, v5
	s_delay_alu instid0(VALU_DEP_2) | instskip(SKIP_3) | instid1(VALU_DEP_2)
	v_cmp_gt_i32_e32 vcc_lo, 16, v4
	v_min_i32_e32 v6, 15, v4
	v_lshrrev_b32_e32 v0, 24, v0
	s_wait_alu 0xfffd
	v_dual_cndmask_b32 v5, 7, v5 :: v_dual_lshlrev_b32 v6, 3, v6
	s_delay_alu instid0(VALU_DEP_2) | instskip(NEXT) | instid1(VALU_DEP_2)
	v_and_b32_e32 v0, 0x80, v0
	v_or_b32_e32 v4, v4, v5
	s_delay_alu instid0(VALU_DEP_3) | instskip(NEXT) | instid1(VALU_DEP_2)
	v_and_b32_e32 v6, 0xf8, v6
	v_cmp_ne_u32_e32 vcc_lo, 0, v4
	v_and_b32_e32 v7, 7, v5
	s_delay_alu instid0(VALU_DEP_1) | instskip(SKIP_1) | instid1(VALU_DEP_1)
	v_or3_b32 v0, v6, v0, v7
	s_wait_alu 0xfffd
	v_cndmask_b32_e32 v4, 0, v0, vcc_lo
.LBB4_711:
	s_wait_alu 0xfffe
	s_or_b32 exec_lo, exec_lo, s6
.LBB4_712:
	s_wait_alu 0xfffe
	s_or_b32 exec_lo, exec_lo, s3
	v_and_b32_e32 v0, 0x7f800000, v1
	s_delay_alu instid0(VALU_DEP_1)
	v_cmp_ne_u32_e32 vcc_lo, 0x7f800000, v0
	v_mov_b32_e32 v0, 0x8000
	s_and_saveexec_b32 s3, vcc_lo
	s_cbranch_execz .LBB4_720
; %bb.713:
	v_mov_b32_e32 v0, 0
	s_mov_b32 s6, exec_lo
	v_cmpx_ne_u32_e32 0, v1
	s_cbranch_execz .LBB4_719
; %bb.714:
	v_bfe_u32 v0, v1, 23, 8
	s_delay_alu instid0(VALU_DEP_1) | instskip(SKIP_2) | instid1(VALU_DEP_2)
	v_sub_nc_u32_e32 v6, 0x78, v0
	v_cmp_gt_u32_e32 vcc_lo, 0x79, v0
	s_wait_alu 0xfffd
	v_dual_cndmask_b32 v6, 0, v6 :: v_dual_and_b32 v5, 0x7fffff, v1
	s_delay_alu instid0(VALU_DEP_1) | instskip(SKIP_2) | instid1(VALU_DEP_2)
	v_or_b32_e32 v7, 0x800000, v5
	v_cmp_eq_u32_e32 vcc_lo, 0, v0
	s_wait_alu 0xfffd
	v_dual_cndmask_b32 v5, v7, v5 :: v_dual_add_nc_u32 v0, 0xffffff89, v0
	v_cndmask_b32_e64 v6, v6, 0x77, vcc_lo
	s_delay_alu instid0(VALU_DEP_2) | instskip(NEXT) | instid1(VALU_DEP_2)
	v_cndmask_b32_e64 v0, v0, 0xffffff8a, vcc_lo
	v_lshrrev_b32_e32 v40, v6, v5
	v_lshl_add_u32 v7, 0x100000, v6, -1
	v_lshlrev_b32_e64 v42, v6, 0x80000
	s_delay_alu instid0(VALU_DEP_4) | instskip(NEXT) | instid1(VALU_DEP_4)
	v_add_nc_u32_e32 v6, v6, v0
	v_bfe_u32 v41, v40, 20, 1
	s_delay_alu instid0(VALU_DEP_4) | instskip(NEXT) | instid1(VALU_DEP_2)
	v_and_b32_e32 v5, v7, v5
	v_add_nc_u32_e32 v7, -1, v41
	s_delay_alu instid0(VALU_DEP_2) | instskip(SKIP_1) | instid1(VALU_DEP_1)
	v_cmp_eq_u32_e64 s0, v5, v42
	s_wait_alu 0xf1ff
	v_cndmask_b32_e64 v5, 0, v7, s0
	v_lshrrev_b32_e32 v7, 23, v40
	s_mov_b32 s0, exec_lo
	s_delay_alu instid0(VALU_DEP_2) | instskip(NEXT) | instid1(VALU_DEP_2)
	v_add_nc_u32_e32 v5, v5, v40
	v_xor_b32_e32 v7, 1, v7
	s_delay_alu instid0(VALU_DEP_2) | instskip(NEXT) | instid1(VALU_DEP_1)
	v_and_b32_e32 v0, 0xfffff, v5
	v_add_nc_u32_e32 v5, v0, v40
                                        ; implicit-def: $vgpr0
	s_delay_alu instid0(VALU_DEP_3)
	v_cmpx_ne_u32_e64 v6, v7
	s_wait_alu 0xfffe
	s_xor_b32 s0, exec_lo, s0
; %bb.715:
	s_delay_alu instid0(VALU_DEP_2) | instskip(SKIP_3) | instid1(VALU_DEP_2)
	v_cmp_lt_u32_e32 vcc_lo, 0xffffff, v5
	v_sub_nc_u32_e32 v0, v6, v7
	s_wait_alu 0xfffd
	v_cndmask_b32_e64 v6, 0, 1, vcc_lo
	v_add_co_ci_u32_e64 v0, null, 0, v0, vcc_lo
	s_delay_alu instid0(VALU_DEP_2)
	v_lshrrev_b32_e32 v5, v6, v5
; %bb.716:
	s_wait_alu 0xfffe
	s_and_not1_saveexec_b32 s0, s0
; %bb.717:
	s_delay_alu instid0(VALU_DEP_1)
	v_bfe_u32 v0, v5, 23, 1
; %bb.718:
	s_wait_alu 0xfffe
	s_or_b32 exec_lo, exec_lo, s0
	v_lshrrev_b32_e32 v5, 20, v5
	s_delay_alu instid0(VALU_DEP_2) | instskip(SKIP_3) | instid1(VALU_DEP_3)
	v_min_i32_e32 v6, 15, v0
	v_cmp_gt_i32_e32 vcc_lo, 16, v0
	v_lshrrev_b32_e32 v1, 24, v1
	s_wait_alu 0xfffd
	v_dual_cndmask_b32 v5, 7, v5 :: v_dual_lshlrev_b32 v6, 3, v6
	s_delay_alu instid0(VALU_DEP_2) | instskip(NEXT) | instid1(VALU_DEP_2)
	v_and_b32_e32 v1, 0x80, v1
	v_and_b32_e32 v6, 0xf8, v6
	s_delay_alu instid0(VALU_DEP_3) | instskip(SKIP_1) | instid1(VALU_DEP_2)
	v_and_b32_e32 v7, 7, v5
	v_or_b32_e32 v0, v0, v5
	v_or3_b32 v1, v1, v6, v7
	s_delay_alu instid0(VALU_DEP_2) | instskip(NEXT) | instid1(VALU_DEP_2)
	v_cmp_ne_u32_e32 vcc_lo, 0, v0
	v_lshlrev_b32_e32 v1, 8, v1
	s_wait_alu 0xfffd
	s_delay_alu instid0(VALU_DEP_1)
	v_cndmask_b32_e32 v0, 0, v1, vcc_lo
.LBB4_719:
	s_wait_alu 0xfffe
	s_or_b32 exec_lo, exec_lo, s6
.LBB4_720:
	s_wait_alu 0xfffe
	s_or_b32 exec_lo, exec_lo, s3
	v_and_b32_e32 v1, 0x7f800000, v2
	v_mov_b32_e32 v45, 0x800000
	s_mov_b32 s3, exec_lo
	s_delay_alu instid0(VALU_DEP_2)
	v_cmpx_ne_u32_e32 0x7f800000, v1
	s_cbranch_execz .LBB4_728
; %bb.721:
	v_mov_b32_e32 v45, 0
	s_mov_b32 s6, exec_lo
	v_cmpx_ne_u32_e32 0, v2
	s_cbranch_execz .LBB4_727
; %bb.722:
	v_bfe_u32 v1, v2, 23, 8
	v_and_b32_e32 v5, 0x7fffff, v2
	s_delay_alu instid0(VALU_DEP_2) | instskip(SKIP_1) | instid1(VALU_DEP_3)
	v_sub_nc_u32_e32 v6, 0x78, v1
	v_cmp_gt_u32_e32 vcc_lo, 0x79, v1
	v_or_b32_e32 v7, 0x800000, v5
	s_wait_alu 0xfffd
	s_delay_alu instid0(VALU_DEP_3)
	v_cndmask_b32_e32 v6, 0, v6, vcc_lo
	v_cmp_eq_u32_e32 vcc_lo, 0, v1
	v_add_nc_u32_e32 v1, 0xffffff89, v1
	s_wait_alu 0xfffd
	v_cndmask_b32_e32 v5, v7, v5, vcc_lo
	v_cndmask_b32_e64 v6, v6, 0x77, vcc_lo
	s_delay_alu instid0(VALU_DEP_3) | instskip(NEXT) | instid1(VALU_DEP_2)
	v_cndmask_b32_e64 v1, v1, 0xffffff8a, vcc_lo
	v_lshrrev_b32_e32 v40, v6, v5
	v_lshl_add_u32 v7, 0x100000, v6, -1
	v_lshlrev_b32_e64 v42, v6, 0x80000
	s_delay_alu instid0(VALU_DEP_4) | instskip(NEXT) | instid1(VALU_DEP_4)
	v_add_nc_u32_e32 v6, v6, v1
	v_bfe_u32 v41, v40, 20, 1
	s_delay_alu instid0(VALU_DEP_4) | instskip(NEXT) | instid1(VALU_DEP_2)
	v_and_b32_e32 v5, v7, v5
	v_add_nc_u32_e32 v7, -1, v41
	s_delay_alu instid0(VALU_DEP_2) | instskip(SKIP_1) | instid1(VALU_DEP_1)
	v_cmp_eq_u32_e64 s0, v5, v42
	s_wait_alu 0xf1ff
	v_cndmask_b32_e64 v5, 0, v7, s0
	v_lshrrev_b32_e32 v7, 23, v40
	s_mov_b32 s0, exec_lo
	s_delay_alu instid0(VALU_DEP_2) | instskip(NEXT) | instid1(VALU_DEP_2)
	v_add_nc_u32_e32 v5, v5, v40
	v_xor_b32_e32 v7, 1, v7
	s_delay_alu instid0(VALU_DEP_2) | instskip(NEXT) | instid1(VALU_DEP_1)
	v_and_b32_e32 v1, 0xfffff, v5
	v_add_nc_u32_e32 v5, v1, v40
                                        ; implicit-def: $vgpr1
	s_delay_alu instid0(VALU_DEP_3)
	v_cmpx_ne_u32_e64 v6, v7
	s_wait_alu 0xfffe
	s_xor_b32 s0, exec_lo, s0
; %bb.723:
	s_delay_alu instid0(VALU_DEP_2) | instskip(SKIP_3) | instid1(VALU_DEP_2)
	v_cmp_lt_u32_e32 vcc_lo, 0xffffff, v5
	v_sub_nc_u32_e32 v1, v6, v7
	s_wait_alu 0xfffd
	v_cndmask_b32_e64 v6, 0, 1, vcc_lo
	v_add_co_ci_u32_e64 v1, null, 0, v1, vcc_lo
	s_delay_alu instid0(VALU_DEP_2)
	v_lshrrev_b32_e32 v5, v6, v5
; %bb.724:
	s_wait_alu 0xfffe
	s_and_not1_saveexec_b32 s0, s0
; %bb.725:
	s_delay_alu instid0(VALU_DEP_1)
	v_bfe_u32 v1, v5, 23, 1
; %bb.726:
	s_wait_alu 0xfffe
	s_or_b32 exec_lo, exec_lo, s0
	v_lshrrev_b32_e32 v5, 20, v5
	s_delay_alu instid0(VALU_DEP_2) | instskip(SKIP_3) | instid1(VALU_DEP_3)
	v_min_i32_e32 v6, 15, v1
	v_cmp_gt_i32_e32 vcc_lo, 16, v1
	v_lshrrev_b32_e32 v2, 24, v2
	s_wait_alu 0xfffd
	v_dual_cndmask_b32 v5, 7, v5 :: v_dual_lshlrev_b32 v6, 3, v6
	s_delay_alu instid0(VALU_DEP_2) | instskip(NEXT) | instid1(VALU_DEP_2)
	v_and_b32_e32 v2, 0x80, v2
	v_and_b32_e32 v6, 0xf8, v6
	s_delay_alu instid0(VALU_DEP_3) | instskip(SKIP_1) | instid1(VALU_DEP_2)
	v_and_b32_e32 v7, 7, v5
	v_or_b32_e32 v1, v1, v5
	v_or3_b32 v2, v2, v6, v7
	s_delay_alu instid0(VALU_DEP_2) | instskip(NEXT) | instid1(VALU_DEP_2)
	v_cmp_ne_u32_e32 vcc_lo, 0, v1
	v_lshlrev_b32_e32 v2, 16, v2
	s_wait_alu 0xfffd
	s_delay_alu instid0(VALU_DEP_1)
	v_cndmask_b32_e32 v45, 0, v2, vcc_lo
.LBB4_727:
	s_wait_alu 0xfffe
	s_or_b32 exec_lo, exec_lo, s6
.LBB4_728:
	s_wait_alu 0xfffe
	s_or_b32 exec_lo, exec_lo, s3
	v_and_b32_e32 v1, 0x7f800000, v3
	v_bfrev_b32_e32 v46, 1
	s_mov_b32 s3, exec_lo
	s_delay_alu instid0(VALU_DEP_2)
	v_cmpx_ne_u32_e32 0x7f800000, v1
	s_cbranch_execz .LBB4_736
; %bb.729:
	v_mov_b32_e32 v46, 0
	s_mov_b32 s6, exec_lo
	v_cmpx_ne_u32_e32 0, v3
	s_cbranch_execz .LBB4_735
; %bb.730:
	v_bfe_u32 v1, v3, 23, 8
	s_delay_alu instid0(VALU_DEP_1) | instskip(SKIP_2) | instid1(VALU_DEP_2)
	v_sub_nc_u32_e32 v5, 0x78, v1
	v_cmp_gt_u32_e32 vcc_lo, 0x79, v1
	s_wait_alu 0xfffd
	v_dual_cndmask_b32 v5, 0, v5 :: v_dual_and_b32 v2, 0x7fffff, v3
	s_delay_alu instid0(VALU_DEP_1) | instskip(SKIP_2) | instid1(VALU_DEP_2)
	v_or_b32_e32 v6, 0x800000, v2
	v_cmp_eq_u32_e32 vcc_lo, 0, v1
	s_wait_alu 0xfffd
	v_dual_cndmask_b32 v2, v6, v2 :: v_dual_add_nc_u32 v1, 0xffffff89, v1
	v_cndmask_b32_e64 v5, v5, 0x77, vcc_lo
	s_delay_alu instid0(VALU_DEP_2) | instskip(NEXT) | instid1(VALU_DEP_2)
	v_cndmask_b32_e64 v1, v1, 0xffffff8a, vcc_lo
	v_lshrrev_b32_e32 v7, v5, v2
	v_lshl_add_u32 v6, 0x100000, v5, -1
	v_lshlrev_b32_e64 v41, v5, 0x80000
	s_delay_alu instid0(VALU_DEP_4) | instskip(NEXT) | instid1(VALU_DEP_4)
	v_add_nc_u32_e32 v5, v5, v1
	v_bfe_u32 v40, v7, 20, 1
	s_delay_alu instid0(VALU_DEP_4) | instskip(NEXT) | instid1(VALU_DEP_2)
	v_and_b32_e32 v2, v6, v2
	v_add_nc_u32_e32 v6, -1, v40
	s_delay_alu instid0(VALU_DEP_2) | instskip(SKIP_1) | instid1(VALU_DEP_1)
	v_cmp_eq_u32_e64 s0, v2, v41
	s_wait_alu 0xf1ff
	v_cndmask_b32_e64 v2, 0, v6, s0
	v_lshrrev_b32_e32 v6, 23, v7
	s_mov_b32 s0, exec_lo
	s_delay_alu instid0(VALU_DEP_2) | instskip(NEXT) | instid1(VALU_DEP_2)
	v_add_nc_u32_e32 v2, v2, v7
	v_xor_b32_e32 v6, 1, v6
	s_delay_alu instid0(VALU_DEP_2) | instskip(NEXT) | instid1(VALU_DEP_1)
	v_and_b32_e32 v1, 0xfffff, v2
	v_add_nc_u32_e32 v2, v1, v7
                                        ; implicit-def: $vgpr1
	s_delay_alu instid0(VALU_DEP_3)
	v_cmpx_ne_u32_e64 v5, v6
	s_wait_alu 0xfffe
	s_xor_b32 s0, exec_lo, s0
; %bb.731:
	s_delay_alu instid0(VALU_DEP_2) | instskip(SKIP_3) | instid1(VALU_DEP_2)
	v_cmp_lt_u32_e32 vcc_lo, 0xffffff, v2
	v_sub_nc_u32_e32 v1, v5, v6
	s_wait_alu 0xfffd
	v_cndmask_b32_e64 v5, 0, 1, vcc_lo
	v_add_co_ci_u32_e64 v1, null, 0, v1, vcc_lo
	s_delay_alu instid0(VALU_DEP_2)
	v_lshrrev_b32_e32 v2, v5, v2
; %bb.732:
	s_wait_alu 0xfffe
	s_and_not1_saveexec_b32 s0, s0
; %bb.733:
	s_delay_alu instid0(VALU_DEP_1)
	v_bfe_u32 v1, v2, 23, 1
; %bb.734:
	s_wait_alu 0xfffe
	s_or_b32 exec_lo, exec_lo, s0
	v_lshrrev_b32_e32 v2, 20, v2
	s_delay_alu instid0(VALU_DEP_2) | instskip(SKIP_3) | instid1(VALU_DEP_2)
	v_cmp_gt_i32_e32 vcc_lo, 16, v1
	v_lshrrev_b32_e32 v3, 24, v3
	v_min_i32_e32 v5, 15, v1
	s_wait_alu 0xfffd
	v_dual_cndmask_b32 v2, 7, v2 :: v_dual_and_b32 v3, 0x80, v3
	s_delay_alu instid0(VALU_DEP_1) | instskip(SKIP_1) | instid1(VALU_DEP_2)
	v_or_b32_e32 v1, v1, v2
	v_and_b32_e32 v6, 7, v2
	v_cmp_ne_u32_e32 vcc_lo, 0, v1
	v_lshlrev_b32_e32 v5, 3, v5
	s_delay_alu instid0(VALU_DEP_1) | instskip(NEXT) | instid1(VALU_DEP_1)
	v_or3_b32 v3, v3, v5, v6
	v_lshlrev_b32_e32 v2, 24, v3
	s_wait_alu 0xfffd
	s_delay_alu instid0(VALU_DEP_1)
	v_cndmask_b32_e32 v46, 0, v2, vcc_lo
.LBB4_735:
	s_wait_alu 0xfffe
	s_or_b32 exec_lo, exec_lo, s6
.LBB4_736:
	s_wait_alu 0xfffe
	s_or_b32 exec_lo, exec_lo, s3
	ds_load_b128 v[40:43], v92 offset:16
	v_or_b32_e32 v47, v0, v4
	v_wmma_f32_16x16x16_fp8_fp8 v[0:7], v[36:37], v[16:17], 0
	v_add_nc_u32_e32 v44, s2, v52
	s_mov_b32 s6, s1
	s_delay_alu instid0(VALU_DEP_3)
	v_or3_b32 v46, v45, v47, v46
	v_mov_b32_e32 v45, 0x80
	s_mov_b32 s3, exec_lo
	buffer_store_b32 v46, v44, s[4:7], null offen
	s_wait_dscnt 0x0
	v_and_b32_e32 v48, 0x7f800000, v40
	s_delay_alu instid0(VALU_DEP_1)
	v_cmpx_ne_u32_e32 0x7f800000, v48
	s_cbranch_execz .LBB4_744
; %bb.737:
	v_mov_b32_e32 v45, 0
	s_mov_b32 s6, exec_lo
	v_cmpx_ne_u32_e32 0, v40
	s_cbranch_execz .LBB4_743
; %bb.738:
	v_bfe_u32 v45, v40, 23, 8
	s_delay_alu instid0(VALU_DEP_1) | instskip(SKIP_2) | instid1(VALU_DEP_2)
	v_sub_nc_u32_e32 v47, 0x78, v45
	v_cmp_gt_u32_e32 vcc_lo, 0x79, v45
	s_wait_alu 0xfffd
	v_dual_cndmask_b32 v47, 0, v47 :: v_dual_and_b32 v46, 0x7fffff, v40
	s_delay_alu instid0(VALU_DEP_1) | instskip(SKIP_2) | instid1(VALU_DEP_2)
	v_or_b32_e32 v48, 0x800000, v46
	v_cmp_eq_u32_e32 vcc_lo, 0, v45
	s_wait_alu 0xfffd
	v_dual_cndmask_b32 v46, v48, v46 :: v_dual_add_nc_u32 v45, 0xffffff89, v45
	v_cndmask_b32_e64 v47, v47, 0x77, vcc_lo
	s_delay_alu instid0(VALU_DEP_2) | instskip(NEXT) | instid1(VALU_DEP_2)
	v_cndmask_b32_e64 v45, v45, 0xffffff8a, vcc_lo
	v_lshrrev_b32_e32 v49, v47, v46
	v_lshl_add_u32 v48, 0x100000, v47, -1
	v_lshlrev_b32_e64 v51, v47, 0x80000
	s_delay_alu instid0(VALU_DEP_4) | instskip(NEXT) | instid1(VALU_DEP_4)
	v_add_nc_u32_e32 v47, v47, v45
	v_bfe_u32 v50, v49, 20, 1
	s_delay_alu instid0(VALU_DEP_4) | instskip(NEXT) | instid1(VALU_DEP_2)
	v_and_b32_e32 v46, v48, v46
	v_add_nc_u32_e32 v48, -1, v50
	s_delay_alu instid0(VALU_DEP_2) | instskip(SKIP_1) | instid1(VALU_DEP_1)
	v_cmp_eq_u32_e64 s0, v46, v51
	s_wait_alu 0xf1ff
	v_cndmask_b32_e64 v46, 0, v48, s0
	v_lshrrev_b32_e32 v48, 23, v49
	s_mov_b32 s0, exec_lo
	s_delay_alu instid0(VALU_DEP_2) | instskip(NEXT) | instid1(VALU_DEP_2)
	v_add_nc_u32_e32 v46, v46, v49
	v_xor_b32_e32 v48, 1, v48
	s_delay_alu instid0(VALU_DEP_2) | instskip(NEXT) | instid1(VALU_DEP_1)
	v_and_b32_e32 v45, 0xfffff, v46
	v_add_nc_u32_e32 v46, v45, v49
                                        ; implicit-def: $vgpr45
	s_delay_alu instid0(VALU_DEP_3)
	v_cmpx_ne_u32_e64 v47, v48
	s_wait_alu 0xfffe
	s_xor_b32 s0, exec_lo, s0
; %bb.739:
	s_delay_alu instid0(VALU_DEP_2) | instskip(SKIP_3) | instid1(VALU_DEP_2)
	v_cmp_lt_u32_e32 vcc_lo, 0xffffff, v46
	v_sub_nc_u32_e32 v45, v47, v48
	s_wait_alu 0xfffd
	v_cndmask_b32_e64 v47, 0, 1, vcc_lo
	v_add_co_ci_u32_e64 v45, null, 0, v45, vcc_lo
	s_delay_alu instid0(VALU_DEP_2)
	v_lshrrev_b32_e32 v46, v47, v46
; %bb.740:
	s_wait_alu 0xfffe
	s_and_not1_saveexec_b32 s0, s0
; %bb.741:
	s_delay_alu instid0(VALU_DEP_1)
	v_bfe_u32 v45, v46, 23, 1
; %bb.742:
	s_wait_alu 0xfffe
	s_or_b32 exec_lo, exec_lo, s0
	v_lshrrev_b32_e32 v46, 20, v46
	s_delay_alu instid0(VALU_DEP_2) | instskip(SKIP_3) | instid1(VALU_DEP_2)
	v_cmp_gt_i32_e32 vcc_lo, 16, v45
	v_min_i32_e32 v47, 15, v45
	v_lshrrev_b32_e32 v40, 24, v40
	s_wait_alu 0xfffd
	v_dual_cndmask_b32 v46, 7, v46 :: v_dual_lshlrev_b32 v47, 3, v47
	s_delay_alu instid0(VALU_DEP_2) | instskip(NEXT) | instid1(VALU_DEP_2)
	v_and_b32_e32 v40, 0x80, v40
	v_or_b32_e32 v45, v45, v46
	s_delay_alu instid0(VALU_DEP_3) | instskip(NEXT) | instid1(VALU_DEP_2)
	v_and_b32_e32 v47, 0xf8, v47
	v_cmp_ne_u32_e32 vcc_lo, 0, v45
	v_and_b32_e32 v48, 7, v46
	s_delay_alu instid0(VALU_DEP_1) | instskip(SKIP_1) | instid1(VALU_DEP_1)
	v_or3_b32 v40, v47, v40, v48
	s_wait_alu 0xfffd
	v_cndmask_b32_e32 v45, 0, v40, vcc_lo
.LBB4_743:
	s_wait_alu 0xfffe
	s_or_b32 exec_lo, exec_lo, s6
.LBB4_744:
	s_delay_alu instid0(SALU_CYCLE_1) | instskip(SKIP_2) | instid1(VALU_DEP_2)
	s_or_b32 exec_lo, exec_lo, s3
	v_and_b32_e32 v40, 0x7f800000, v41
	v_wmma_f32_16x16x16_fp8_fp8 v[0:7], v[38:39], v[18:19], v[0:7]
	v_cmp_ne_u32_e32 vcc_lo, 0x7f800000, v40
	v_mov_b32_e32 v40, 0x8000
	s_and_saveexec_b32 s3, vcc_lo
	s_cbranch_execz .LBB4_752
; %bb.745:
	v_mov_b32_e32 v40, 0
	s_mov_b32 s6, exec_lo
	v_cmpx_ne_u32_e32 0, v41
	s_cbranch_execz .LBB4_751
; %bb.746:
	v_bfe_u32 v40, v41, 23, 8
	s_delay_alu instid0(VALU_DEP_1) | instskip(SKIP_2) | instid1(VALU_DEP_2)
	v_sub_nc_u32_e32 v47, 0x78, v40
	v_cmp_gt_u32_e32 vcc_lo, 0x79, v40
	s_wait_alu 0xfffd
	v_dual_cndmask_b32 v47, 0, v47 :: v_dual_and_b32 v46, 0x7fffff, v41
	s_delay_alu instid0(VALU_DEP_1) | instskip(SKIP_4) | instid1(VALU_DEP_2)
	v_or_b32_e32 v48, 0x800000, v46
	v_cmp_eq_u32_e32 vcc_lo, 0, v40
	v_add_nc_u32_e32 v40, 0xffffff89, v40
	s_wait_alu 0xfffd
	v_cndmask_b32_e64 v47, v47, 0x77, vcc_lo
	v_cndmask_b32_e64 v40, v40, 0xffffff8a, vcc_lo
	v_cndmask_b32_e32 v46, v48, v46, vcc_lo
	s_delay_alu instid0(VALU_DEP_3) | instskip(SKIP_1) | instid1(VALU_DEP_3)
	v_lshl_add_u32 v48, 0x100000, v47, -1
	v_lshlrev_b32_e64 v51, v47, 0x80000
	v_lshrrev_b32_e32 v49, v47, v46
	v_add_nc_u32_e32 v47, v47, v40
	s_delay_alu instid0(VALU_DEP_4) | instskip(NEXT) | instid1(VALU_DEP_3)
	v_and_b32_e32 v46, v48, v46
	v_bfe_u32 v50, v49, 20, 1
	s_delay_alu instid0(VALU_DEP_2) | instskip(NEXT) | instid1(VALU_DEP_2)
	v_cmp_eq_u32_e64 s0, v46, v51
	v_add_nc_u32_e32 v48, -1, v50
	s_wait_alu 0xf1ff
	s_delay_alu instid0(VALU_DEP_1) | instskip(SKIP_2) | instid1(VALU_DEP_2)
	v_cndmask_b32_e64 v46, 0, v48, s0
	v_lshrrev_b32_e32 v48, 23, v49
	s_mov_b32 s0, exec_lo
	v_add_nc_u32_e32 v46, v46, v49
	s_delay_alu instid0(VALU_DEP_2) | instskip(NEXT) | instid1(VALU_DEP_2)
	v_xor_b32_e32 v48, 1, v48
	v_and_b32_e32 v40, 0xfffff, v46
	s_delay_alu instid0(VALU_DEP_1) | instskip(NEXT) | instid1(VALU_DEP_3)
	v_add_nc_u32_e32 v46, v40, v49
                                        ; implicit-def: $vgpr40
	v_cmpx_ne_u32_e64 v47, v48
	s_wait_alu 0xfffe
	s_xor_b32 s0, exec_lo, s0
; %bb.747:
	s_delay_alu instid0(VALU_DEP_2) | instskip(SKIP_3) | instid1(VALU_DEP_2)
	v_cmp_lt_u32_e32 vcc_lo, 0xffffff, v46
	v_sub_nc_u32_e32 v40, v47, v48
	s_wait_alu 0xfffd
	v_cndmask_b32_e64 v47, 0, 1, vcc_lo
	v_add_co_ci_u32_e64 v40, null, 0, v40, vcc_lo
	s_delay_alu instid0(VALU_DEP_2)
	v_lshrrev_b32_e32 v46, v47, v46
; %bb.748:
	s_wait_alu 0xfffe
	s_and_not1_saveexec_b32 s0, s0
; %bb.749:
	s_delay_alu instid0(VALU_DEP_1)
	v_bfe_u32 v40, v46, 23, 1
; %bb.750:
	s_wait_alu 0xfffe
	s_or_b32 exec_lo, exec_lo, s0
	v_lshrrev_b32_e32 v46, 20, v46
	s_delay_alu instid0(VALU_DEP_2) | instskip(SKIP_3) | instid1(VALU_DEP_2)
	v_cmp_gt_i32_e32 vcc_lo, 16, v40
	v_min_i32_e32 v47, 15, v40
	v_lshrrev_b32_e32 v41, 24, v41
	s_wait_alu 0xfffd
	v_dual_cndmask_b32 v46, 7, v46 :: v_dual_lshlrev_b32 v47, 3, v47
	s_delay_alu instid0(VALU_DEP_2) | instskip(NEXT) | instid1(VALU_DEP_2)
	v_and_b32_e32 v41, 0x80, v41
	v_or_b32_e32 v40, v40, v46
	v_and_b32_e32 v48, 7, v46
	s_delay_alu instid0(VALU_DEP_2) | instskip(SKIP_1) | instid1(VALU_DEP_1)
	v_cmp_ne_u32_e32 vcc_lo, 0, v40
	v_and_b32_e32 v47, 0xf8, v47
	v_or3_b32 v41, v41, v47, v48
	s_delay_alu instid0(VALU_DEP_1) | instskip(SKIP_1) | instid1(VALU_DEP_1)
	v_lshlrev_b32_e32 v41, 8, v41
	s_wait_alu 0xfffd
	v_cndmask_b32_e32 v40, 0, v41, vcc_lo
.LBB4_751:
	s_wait_alu 0xfffe
	s_or_b32 exec_lo, exec_lo, s6
.LBB4_752:
	s_wait_alu 0xfffe
	s_or_b32 exec_lo, exec_lo, s3
	v_and_b32_e32 v41, 0x7f800000, v42
	v_wmma_f32_16x16x16_fp8_fp8 v[0:7], v[32:33], v[8:9], v[0:7]
	s_delay_alu instid0(VALU_DEP_2)
	v_cmp_ne_u32_e32 vcc_lo, 0x7f800000, v41
	v_mov_b32_e32 v41, 0x800000
	s_and_saveexec_b32 s3, vcc_lo
	s_cbranch_execz .LBB4_760
; %bb.753:
	v_mov_b32_e32 v41, 0
	s_mov_b32 s6, exec_lo
	v_cmpx_ne_u32_e32 0, v42
	s_cbranch_execz .LBB4_759
; %bb.754:
	v_bfe_u32 v41, v42, 23, 8
	s_delay_alu instid0(VALU_DEP_1) | instskip(SKIP_2) | instid1(VALU_DEP_2)
	v_sub_nc_u32_e32 v47, 0x78, v41
	v_cmp_gt_u32_e32 vcc_lo, 0x79, v41
	s_wait_alu 0xfffd
	v_dual_cndmask_b32 v47, 0, v47 :: v_dual_and_b32 v46, 0x7fffff, v42
	s_delay_alu instid0(VALU_DEP_1) | instskip(SKIP_2) | instid1(VALU_DEP_2)
	v_or_b32_e32 v48, 0x800000, v46
	v_cmp_eq_u32_e32 vcc_lo, 0, v41
	s_wait_alu 0xfffd
	v_dual_cndmask_b32 v46, v48, v46 :: v_dual_add_nc_u32 v41, 0xffffff89, v41
	v_cndmask_b32_e64 v47, v47, 0x77, vcc_lo
	s_delay_alu instid0(VALU_DEP_2) | instskip(NEXT) | instid1(VALU_DEP_2)
	v_cndmask_b32_e64 v41, v41, 0xffffff8a, vcc_lo
	v_lshrrev_b32_e32 v49, v47, v46
	v_lshl_add_u32 v48, 0x100000, v47, -1
	v_lshlrev_b32_e64 v51, v47, 0x80000
	s_delay_alu instid0(VALU_DEP_4) | instskip(NEXT) | instid1(VALU_DEP_4)
	v_add_nc_u32_e32 v47, v47, v41
	v_bfe_u32 v50, v49, 20, 1
	s_delay_alu instid0(VALU_DEP_4) | instskip(NEXT) | instid1(VALU_DEP_2)
	v_and_b32_e32 v46, v48, v46
	v_add_nc_u32_e32 v48, -1, v50
	s_delay_alu instid0(VALU_DEP_2) | instskip(SKIP_1) | instid1(VALU_DEP_1)
	v_cmp_eq_u32_e64 s0, v46, v51
	s_wait_alu 0xf1ff
	v_cndmask_b32_e64 v46, 0, v48, s0
	v_lshrrev_b32_e32 v48, 23, v49
	s_mov_b32 s0, exec_lo
	s_delay_alu instid0(VALU_DEP_2) | instskip(NEXT) | instid1(VALU_DEP_2)
	v_add_nc_u32_e32 v46, v46, v49
	v_xor_b32_e32 v48, 1, v48
	s_delay_alu instid0(VALU_DEP_2) | instskip(NEXT) | instid1(VALU_DEP_1)
	v_and_b32_e32 v41, 0xfffff, v46
	v_add_nc_u32_e32 v46, v41, v49
                                        ; implicit-def: $vgpr41
	s_delay_alu instid0(VALU_DEP_3)
	v_cmpx_ne_u32_e64 v47, v48
	s_wait_alu 0xfffe
	s_xor_b32 s0, exec_lo, s0
; %bb.755:
	s_delay_alu instid0(VALU_DEP_2) | instskip(SKIP_3) | instid1(VALU_DEP_2)
	v_cmp_lt_u32_e32 vcc_lo, 0xffffff, v46
	v_sub_nc_u32_e32 v41, v47, v48
	s_wait_alu 0xfffd
	v_cndmask_b32_e64 v47, 0, 1, vcc_lo
	v_add_co_ci_u32_e64 v41, null, 0, v41, vcc_lo
	s_delay_alu instid0(VALU_DEP_2)
	v_lshrrev_b32_e32 v46, v47, v46
; %bb.756:
	s_wait_alu 0xfffe
	s_and_not1_saveexec_b32 s0, s0
; %bb.757:
	s_delay_alu instid0(VALU_DEP_1)
	v_bfe_u32 v41, v46, 23, 1
; %bb.758:
	s_wait_alu 0xfffe
	s_or_b32 exec_lo, exec_lo, s0
	v_lshrrev_b32_e32 v46, 20, v46
	s_delay_alu instid0(VALU_DEP_2) | instskip(SKIP_3) | instid1(VALU_DEP_3)
	v_min_i32_e32 v47, 15, v41
	v_cmp_gt_i32_e32 vcc_lo, 16, v41
	v_lshrrev_b32_e32 v42, 24, v42
	s_wait_alu 0xfffd
	v_dual_cndmask_b32 v46, 7, v46 :: v_dual_lshlrev_b32 v47, 3, v47
	s_delay_alu instid0(VALU_DEP_2) | instskip(NEXT) | instid1(VALU_DEP_2)
	v_and_b32_e32 v42, 0x80, v42
	v_and_b32_e32 v47, 0xf8, v47
	s_delay_alu instid0(VALU_DEP_3) | instskip(SKIP_1) | instid1(VALU_DEP_2)
	v_and_b32_e32 v48, 7, v46
	v_or_b32_e32 v41, v41, v46
	v_or3_b32 v42, v42, v47, v48
	s_delay_alu instid0(VALU_DEP_2) | instskip(NEXT) | instid1(VALU_DEP_2)
	v_cmp_ne_u32_e32 vcc_lo, 0, v41
	v_lshlrev_b32_e32 v42, 16, v42
	s_wait_alu 0xfffd
	s_delay_alu instid0(VALU_DEP_1)
	v_cndmask_b32_e32 v41, 0, v42, vcc_lo
.LBB4_759:
	s_wait_alu 0xfffe
	s_or_b32 exec_lo, exec_lo, s6
.LBB4_760:
	s_wait_alu 0xfffe
	s_or_b32 exec_lo, exec_lo, s3
	v_and_b32_e32 v42, 0x7f800000, v43
	v_wmma_f32_16x16x16_fp8_fp8 v[0:7], v[34:35], v[10:11], v[0:7]
	s_delay_alu instid0(VALU_DEP_2)
	v_cmp_ne_u32_e32 vcc_lo, 0x7f800000, v42
	v_bfrev_b32_e32 v42, 1
	s_and_saveexec_b32 s3, vcc_lo
	s_cbranch_execz .LBB4_768
; %bb.761:
	v_mov_b32_e32 v42, 0
	s_mov_b32 s6, exec_lo
	v_cmpx_ne_u32_e32 0, v43
	s_cbranch_execz .LBB4_767
; %bb.762:
	v_bfe_u32 v42, v43, 23, 8
	v_and_b32_e32 v46, 0x7fffff, v43
	s_delay_alu instid0(VALU_DEP_2) | instskip(SKIP_1) | instid1(VALU_DEP_3)
	v_sub_nc_u32_e32 v47, 0x78, v42
	v_cmp_gt_u32_e32 vcc_lo, 0x79, v42
	v_or_b32_e32 v48, 0x800000, v46
	s_wait_alu 0xfffd
	s_delay_alu instid0(VALU_DEP_3)
	v_cndmask_b32_e32 v47, 0, v47, vcc_lo
	v_cmp_eq_u32_e32 vcc_lo, 0, v42
	v_add_nc_u32_e32 v42, 0xffffff89, v42
	s_wait_alu 0xfffd
	v_cndmask_b32_e32 v46, v48, v46, vcc_lo
	v_cndmask_b32_e64 v47, v47, 0x77, vcc_lo
	s_delay_alu instid0(VALU_DEP_3) | instskip(NEXT) | instid1(VALU_DEP_2)
	v_cndmask_b32_e64 v42, v42, 0xffffff8a, vcc_lo
	v_lshrrev_b32_e32 v49, v47, v46
	v_lshl_add_u32 v48, 0x100000, v47, -1
	v_lshlrev_b32_e64 v51, v47, 0x80000
	s_delay_alu instid0(VALU_DEP_4) | instskip(NEXT) | instid1(VALU_DEP_4)
	v_add_nc_u32_e32 v47, v47, v42
	v_bfe_u32 v50, v49, 20, 1
	s_delay_alu instid0(VALU_DEP_4) | instskip(NEXT) | instid1(VALU_DEP_2)
	v_and_b32_e32 v46, v48, v46
	v_add_nc_u32_e32 v48, -1, v50
	s_delay_alu instid0(VALU_DEP_2) | instskip(SKIP_1) | instid1(VALU_DEP_1)
	v_cmp_eq_u32_e64 s0, v46, v51
	s_wait_alu 0xf1ff
	v_cndmask_b32_e64 v46, 0, v48, s0
	v_lshrrev_b32_e32 v48, 23, v49
	s_mov_b32 s0, exec_lo
	s_delay_alu instid0(VALU_DEP_2) | instskip(NEXT) | instid1(VALU_DEP_2)
	v_add_nc_u32_e32 v46, v46, v49
	v_xor_b32_e32 v48, 1, v48
	s_delay_alu instid0(VALU_DEP_2) | instskip(NEXT) | instid1(VALU_DEP_1)
	v_and_b32_e32 v42, 0xfffff, v46
	v_add_nc_u32_e32 v46, v42, v49
                                        ; implicit-def: $vgpr42
	s_delay_alu instid0(VALU_DEP_3)
	v_cmpx_ne_u32_e64 v47, v48
	s_wait_alu 0xfffe
	s_xor_b32 s0, exec_lo, s0
; %bb.763:
	s_delay_alu instid0(VALU_DEP_2) | instskip(SKIP_3) | instid1(VALU_DEP_2)
	v_cmp_lt_u32_e32 vcc_lo, 0xffffff, v46
	v_sub_nc_u32_e32 v42, v47, v48
	s_wait_alu 0xfffd
	v_cndmask_b32_e64 v47, 0, 1, vcc_lo
	v_add_co_ci_u32_e64 v42, null, 0, v42, vcc_lo
	s_delay_alu instid0(VALU_DEP_2)
	v_lshrrev_b32_e32 v46, v47, v46
; %bb.764:
	s_wait_alu 0xfffe
	s_and_not1_saveexec_b32 s0, s0
; %bb.765:
	s_delay_alu instid0(VALU_DEP_1)
	v_bfe_u32 v42, v46, 23, 1
; %bb.766:
	s_wait_alu 0xfffe
	s_or_b32 exec_lo, exec_lo, s0
	v_lshrrev_b32_e32 v46, 20, v46
	s_delay_alu instid0(VALU_DEP_2) | instskip(SKIP_3) | instid1(VALU_DEP_2)
	v_cmp_gt_i32_e32 vcc_lo, 16, v42
	v_lshrrev_b32_e32 v43, 24, v43
	v_min_i32_e32 v47, 15, v42
	s_wait_alu 0xfffd
	v_dual_cndmask_b32 v46, 7, v46 :: v_dual_and_b32 v43, 0x80, v43
	s_delay_alu instid0(VALU_DEP_2) | instskip(NEXT) | instid1(VALU_DEP_2)
	v_lshlrev_b32_e32 v47, 3, v47
	v_and_b32_e32 v48, 7, v46
	v_or_b32_e32 v42, v42, v46
	s_delay_alu instid0(VALU_DEP_2) | instskip(NEXT) | instid1(VALU_DEP_2)
	v_or3_b32 v43, v43, v47, v48
	v_cmp_ne_u32_e32 vcc_lo, 0, v42
	s_delay_alu instid0(VALU_DEP_2) | instskip(SKIP_1) | instid1(VALU_DEP_1)
	v_lshlrev_b32_e32 v43, 24, v43
	s_wait_alu 0xfffd
	v_cndmask_b32_e32 v42, 0, v43, vcc_lo
.LBB4_767:
	s_wait_alu 0xfffe
	s_or_b32 exec_lo, exec_lo, s6
.LBB4_768:
	s_wait_alu 0xfffe
	s_or_b32 exec_lo, exec_lo, s3
	v_or_b32_e32 v40, v40, v45
	s_mov_b32 s6, s1
	s_delay_alu instid0(VALU_DEP_1)
	v_or3_b32 v40, v41, v40, v42
	buffer_store_b32 v40, v44, s[4:7], null offen offset:4
	s_wait_dscnt 0x0
	s_barrier_signal -1
	s_barrier_wait -1
	ds_store_2addr_stride64_b32 v93, v0, v1 offset1:1
	ds_store_2addr_stride64_b32 v93, v2, v3 offset0:2 offset1:3
	ds_store_2addr_stride64_b32 v93, v4, v5 offset0:4 offset1:5
	;; [unrolled: 1-line block ×3, first 2 shown]
	s_wait_dscnt 0x0
	s_barrier_signal -1
	s_barrier_wait -1
	ds_load_b128 v[0:3], v92
	s_wait_dscnt 0x0
	v_and_b32_e32 v4, 0x7f800000, v0
	s_delay_alu instid0(VALU_DEP_1)
	v_cmp_ne_u32_e32 vcc_lo, 0x7f800000, v4
	v_mov_b32_e32 v4, 0x80
	s_and_saveexec_b32 s3, vcc_lo
	s_cbranch_execz .LBB4_776
; %bb.769:
	v_mov_b32_e32 v4, 0
	s_mov_b32 s6, exec_lo
	v_cmpx_ne_u32_e32 0, v0
	s_cbranch_execz .LBB4_775
; %bb.770:
	v_bfe_u32 v4, v0, 23, 8
	s_delay_alu instid0(VALU_DEP_1) | instskip(SKIP_2) | instid1(VALU_DEP_2)
	v_sub_nc_u32_e32 v6, 0x78, v4
	v_cmp_gt_u32_e32 vcc_lo, 0x79, v4
	s_wait_alu 0xfffd
	v_dual_cndmask_b32 v6, 0, v6 :: v_dual_and_b32 v5, 0x7fffff, v0
	s_delay_alu instid0(VALU_DEP_1) | instskip(SKIP_2) | instid1(VALU_DEP_2)
	v_or_b32_e32 v7, 0x800000, v5
	v_cmp_eq_u32_e32 vcc_lo, 0, v4
	s_wait_alu 0xfffd
	v_dual_cndmask_b32 v5, v7, v5 :: v_dual_add_nc_u32 v4, 0xffffff89, v4
	v_cndmask_b32_e64 v6, v6, 0x77, vcc_lo
	s_delay_alu instid0(VALU_DEP_2) | instskip(NEXT) | instid1(VALU_DEP_2)
	v_cndmask_b32_e64 v4, v4, 0xffffff8a, vcc_lo
	v_lshrrev_b32_e32 v40, v6, v5
	v_lshl_add_u32 v7, 0x100000, v6, -1
	v_lshlrev_b32_e64 v42, v6, 0x80000
	s_delay_alu instid0(VALU_DEP_4) | instskip(NEXT) | instid1(VALU_DEP_4)
	v_add_nc_u32_e32 v6, v6, v4
	v_bfe_u32 v41, v40, 20, 1
	s_delay_alu instid0(VALU_DEP_4) | instskip(NEXT) | instid1(VALU_DEP_2)
	v_and_b32_e32 v5, v7, v5
	v_add_nc_u32_e32 v7, -1, v41
	s_delay_alu instid0(VALU_DEP_2) | instskip(SKIP_1) | instid1(VALU_DEP_1)
	v_cmp_eq_u32_e64 s0, v5, v42
	s_wait_alu 0xf1ff
	v_cndmask_b32_e64 v5, 0, v7, s0
	v_lshrrev_b32_e32 v7, 23, v40
	s_mov_b32 s0, exec_lo
	s_delay_alu instid0(VALU_DEP_2) | instskip(NEXT) | instid1(VALU_DEP_2)
	v_add_nc_u32_e32 v5, v5, v40
	v_xor_b32_e32 v7, 1, v7
	s_delay_alu instid0(VALU_DEP_2) | instskip(NEXT) | instid1(VALU_DEP_1)
	v_and_b32_e32 v4, 0xfffff, v5
	v_add_nc_u32_e32 v5, v4, v40
                                        ; implicit-def: $vgpr4
	s_delay_alu instid0(VALU_DEP_3)
	v_cmpx_ne_u32_e64 v6, v7
	s_wait_alu 0xfffe
	s_xor_b32 s0, exec_lo, s0
; %bb.771:
	s_delay_alu instid0(VALU_DEP_2) | instskip(SKIP_3) | instid1(VALU_DEP_2)
	v_cmp_lt_u32_e32 vcc_lo, 0xffffff, v5
	v_sub_nc_u32_e32 v4, v6, v7
	s_wait_alu 0xfffd
	v_cndmask_b32_e64 v6, 0, 1, vcc_lo
	v_add_co_ci_u32_e64 v4, null, 0, v4, vcc_lo
	s_delay_alu instid0(VALU_DEP_2)
	v_lshrrev_b32_e32 v5, v6, v5
; %bb.772:
	s_wait_alu 0xfffe
	s_and_not1_saveexec_b32 s0, s0
; %bb.773:
	s_delay_alu instid0(VALU_DEP_1)
	v_bfe_u32 v4, v5, 23, 1
; %bb.774:
	s_wait_alu 0xfffe
	s_or_b32 exec_lo, exec_lo, s0
	v_lshrrev_b32_e32 v5, 20, v5
	s_delay_alu instid0(VALU_DEP_2) | instskip(SKIP_3) | instid1(VALU_DEP_2)
	v_cmp_gt_i32_e32 vcc_lo, 16, v4
	v_min_i32_e32 v6, 15, v4
	v_lshrrev_b32_e32 v0, 24, v0
	s_wait_alu 0xfffd
	v_dual_cndmask_b32 v5, 7, v5 :: v_dual_lshlrev_b32 v6, 3, v6
	s_delay_alu instid0(VALU_DEP_2) | instskip(NEXT) | instid1(VALU_DEP_2)
	v_and_b32_e32 v0, 0x80, v0
	v_or_b32_e32 v4, v4, v5
	s_delay_alu instid0(VALU_DEP_3) | instskip(NEXT) | instid1(VALU_DEP_2)
	v_and_b32_e32 v6, 0xf8, v6
	v_cmp_ne_u32_e32 vcc_lo, 0, v4
	v_and_b32_e32 v7, 7, v5
	s_delay_alu instid0(VALU_DEP_1) | instskip(SKIP_1) | instid1(VALU_DEP_1)
	v_or3_b32 v0, v6, v0, v7
	s_wait_alu 0xfffd
	v_cndmask_b32_e32 v4, 0, v0, vcc_lo
.LBB4_775:
	s_wait_alu 0xfffe
	s_or_b32 exec_lo, exec_lo, s6
.LBB4_776:
	s_wait_alu 0xfffe
	s_or_b32 exec_lo, exec_lo, s3
	v_and_b32_e32 v0, 0x7f800000, v1
	s_delay_alu instid0(VALU_DEP_1)
	v_cmp_ne_u32_e32 vcc_lo, 0x7f800000, v0
	v_mov_b32_e32 v0, 0x8000
	s_and_saveexec_b32 s3, vcc_lo
	s_cbranch_execz .LBB4_784
; %bb.777:
	v_mov_b32_e32 v0, 0
	s_mov_b32 s6, exec_lo
	v_cmpx_ne_u32_e32 0, v1
	s_cbranch_execz .LBB4_783
; %bb.778:
	v_bfe_u32 v0, v1, 23, 8
	s_delay_alu instid0(VALU_DEP_1) | instskip(SKIP_2) | instid1(VALU_DEP_2)
	v_sub_nc_u32_e32 v6, 0x78, v0
	v_cmp_gt_u32_e32 vcc_lo, 0x79, v0
	s_wait_alu 0xfffd
	v_dual_cndmask_b32 v6, 0, v6 :: v_dual_and_b32 v5, 0x7fffff, v1
	s_delay_alu instid0(VALU_DEP_1) | instskip(SKIP_2) | instid1(VALU_DEP_2)
	v_or_b32_e32 v7, 0x800000, v5
	v_cmp_eq_u32_e32 vcc_lo, 0, v0
	s_wait_alu 0xfffd
	v_dual_cndmask_b32 v5, v7, v5 :: v_dual_add_nc_u32 v0, 0xffffff89, v0
	v_cndmask_b32_e64 v6, v6, 0x77, vcc_lo
	s_delay_alu instid0(VALU_DEP_2) | instskip(NEXT) | instid1(VALU_DEP_2)
	v_cndmask_b32_e64 v0, v0, 0xffffff8a, vcc_lo
	v_lshrrev_b32_e32 v40, v6, v5
	v_lshl_add_u32 v7, 0x100000, v6, -1
	v_lshlrev_b32_e64 v42, v6, 0x80000
	s_delay_alu instid0(VALU_DEP_4) | instskip(NEXT) | instid1(VALU_DEP_4)
	v_add_nc_u32_e32 v6, v6, v0
	v_bfe_u32 v41, v40, 20, 1
	s_delay_alu instid0(VALU_DEP_4) | instskip(NEXT) | instid1(VALU_DEP_2)
	v_and_b32_e32 v5, v7, v5
	v_add_nc_u32_e32 v7, -1, v41
	s_delay_alu instid0(VALU_DEP_2) | instskip(SKIP_1) | instid1(VALU_DEP_1)
	v_cmp_eq_u32_e64 s0, v5, v42
	s_wait_alu 0xf1ff
	v_cndmask_b32_e64 v5, 0, v7, s0
	v_lshrrev_b32_e32 v7, 23, v40
	s_mov_b32 s0, exec_lo
	s_delay_alu instid0(VALU_DEP_2) | instskip(NEXT) | instid1(VALU_DEP_2)
	v_add_nc_u32_e32 v5, v5, v40
	v_xor_b32_e32 v7, 1, v7
	s_delay_alu instid0(VALU_DEP_2) | instskip(NEXT) | instid1(VALU_DEP_1)
	v_and_b32_e32 v0, 0xfffff, v5
	v_add_nc_u32_e32 v5, v0, v40
                                        ; implicit-def: $vgpr0
	s_delay_alu instid0(VALU_DEP_3)
	v_cmpx_ne_u32_e64 v6, v7
	s_wait_alu 0xfffe
	s_xor_b32 s0, exec_lo, s0
; %bb.779:
	s_delay_alu instid0(VALU_DEP_2) | instskip(SKIP_3) | instid1(VALU_DEP_2)
	v_cmp_lt_u32_e32 vcc_lo, 0xffffff, v5
	v_sub_nc_u32_e32 v0, v6, v7
	s_wait_alu 0xfffd
	v_cndmask_b32_e64 v6, 0, 1, vcc_lo
	v_add_co_ci_u32_e64 v0, null, 0, v0, vcc_lo
	s_delay_alu instid0(VALU_DEP_2)
	v_lshrrev_b32_e32 v5, v6, v5
; %bb.780:
	s_wait_alu 0xfffe
	s_and_not1_saveexec_b32 s0, s0
; %bb.781:
	s_delay_alu instid0(VALU_DEP_1)
	v_bfe_u32 v0, v5, 23, 1
; %bb.782:
	s_wait_alu 0xfffe
	s_or_b32 exec_lo, exec_lo, s0
	v_lshrrev_b32_e32 v5, 20, v5
	s_delay_alu instid0(VALU_DEP_2) | instskip(SKIP_3) | instid1(VALU_DEP_3)
	v_min_i32_e32 v6, 15, v0
	v_cmp_gt_i32_e32 vcc_lo, 16, v0
	v_lshrrev_b32_e32 v1, 24, v1
	s_wait_alu 0xfffd
	v_dual_cndmask_b32 v5, 7, v5 :: v_dual_lshlrev_b32 v6, 3, v6
	s_delay_alu instid0(VALU_DEP_2) | instskip(NEXT) | instid1(VALU_DEP_2)
	v_and_b32_e32 v1, 0x80, v1
	v_and_b32_e32 v6, 0xf8, v6
	s_delay_alu instid0(VALU_DEP_3) | instskip(SKIP_1) | instid1(VALU_DEP_2)
	v_and_b32_e32 v7, 7, v5
	v_or_b32_e32 v0, v0, v5
	v_or3_b32 v1, v1, v6, v7
	s_delay_alu instid0(VALU_DEP_2) | instskip(NEXT) | instid1(VALU_DEP_2)
	v_cmp_ne_u32_e32 vcc_lo, 0, v0
	v_lshlrev_b32_e32 v1, 8, v1
	s_wait_alu 0xfffd
	s_delay_alu instid0(VALU_DEP_1)
	v_cndmask_b32_e32 v0, 0, v1, vcc_lo
.LBB4_783:
	s_wait_alu 0xfffe
	s_or_b32 exec_lo, exec_lo, s6
.LBB4_784:
	s_wait_alu 0xfffe
	s_or_b32 exec_lo, exec_lo, s3
	v_and_b32_e32 v1, 0x7f800000, v2
	v_mov_b32_e32 v45, 0x800000
	s_mov_b32 s3, exec_lo
	s_delay_alu instid0(VALU_DEP_2)
	v_cmpx_ne_u32_e32 0x7f800000, v1
	s_cbranch_execz .LBB4_792
; %bb.785:
	v_mov_b32_e32 v45, 0
	s_mov_b32 s6, exec_lo
	v_cmpx_ne_u32_e32 0, v2
	s_cbranch_execz .LBB4_791
; %bb.786:
	v_bfe_u32 v1, v2, 23, 8
	v_and_b32_e32 v5, 0x7fffff, v2
	s_delay_alu instid0(VALU_DEP_2) | instskip(SKIP_1) | instid1(VALU_DEP_3)
	v_sub_nc_u32_e32 v6, 0x78, v1
	v_cmp_gt_u32_e32 vcc_lo, 0x79, v1
	v_or_b32_e32 v7, 0x800000, v5
	s_wait_alu 0xfffd
	s_delay_alu instid0(VALU_DEP_3)
	v_cndmask_b32_e32 v6, 0, v6, vcc_lo
	v_cmp_eq_u32_e32 vcc_lo, 0, v1
	v_add_nc_u32_e32 v1, 0xffffff89, v1
	s_wait_alu 0xfffd
	v_cndmask_b32_e32 v5, v7, v5, vcc_lo
	v_cndmask_b32_e64 v6, v6, 0x77, vcc_lo
	s_delay_alu instid0(VALU_DEP_3) | instskip(NEXT) | instid1(VALU_DEP_2)
	v_cndmask_b32_e64 v1, v1, 0xffffff8a, vcc_lo
	v_lshrrev_b32_e32 v40, v6, v5
	v_lshl_add_u32 v7, 0x100000, v6, -1
	v_lshlrev_b32_e64 v42, v6, 0x80000
	s_delay_alu instid0(VALU_DEP_4) | instskip(NEXT) | instid1(VALU_DEP_4)
	v_add_nc_u32_e32 v6, v6, v1
	v_bfe_u32 v41, v40, 20, 1
	s_delay_alu instid0(VALU_DEP_4) | instskip(NEXT) | instid1(VALU_DEP_2)
	v_and_b32_e32 v5, v7, v5
	v_add_nc_u32_e32 v7, -1, v41
	s_delay_alu instid0(VALU_DEP_2) | instskip(SKIP_1) | instid1(VALU_DEP_1)
	v_cmp_eq_u32_e64 s0, v5, v42
	s_wait_alu 0xf1ff
	v_cndmask_b32_e64 v5, 0, v7, s0
	v_lshrrev_b32_e32 v7, 23, v40
	s_mov_b32 s0, exec_lo
	s_delay_alu instid0(VALU_DEP_2) | instskip(NEXT) | instid1(VALU_DEP_2)
	v_add_nc_u32_e32 v5, v5, v40
	v_xor_b32_e32 v7, 1, v7
	s_delay_alu instid0(VALU_DEP_2) | instskip(NEXT) | instid1(VALU_DEP_1)
	v_and_b32_e32 v1, 0xfffff, v5
	v_add_nc_u32_e32 v5, v1, v40
                                        ; implicit-def: $vgpr1
	s_delay_alu instid0(VALU_DEP_3)
	v_cmpx_ne_u32_e64 v6, v7
	s_wait_alu 0xfffe
	s_xor_b32 s0, exec_lo, s0
; %bb.787:
	s_delay_alu instid0(VALU_DEP_2) | instskip(SKIP_3) | instid1(VALU_DEP_2)
	v_cmp_lt_u32_e32 vcc_lo, 0xffffff, v5
	v_sub_nc_u32_e32 v1, v6, v7
	s_wait_alu 0xfffd
	v_cndmask_b32_e64 v6, 0, 1, vcc_lo
	v_add_co_ci_u32_e64 v1, null, 0, v1, vcc_lo
	s_delay_alu instid0(VALU_DEP_2)
	v_lshrrev_b32_e32 v5, v6, v5
; %bb.788:
	s_wait_alu 0xfffe
	s_and_not1_saveexec_b32 s0, s0
; %bb.789:
	s_delay_alu instid0(VALU_DEP_1)
	v_bfe_u32 v1, v5, 23, 1
; %bb.790:
	s_wait_alu 0xfffe
	s_or_b32 exec_lo, exec_lo, s0
	v_lshrrev_b32_e32 v5, 20, v5
	s_delay_alu instid0(VALU_DEP_2) | instskip(SKIP_3) | instid1(VALU_DEP_3)
	v_min_i32_e32 v6, 15, v1
	v_cmp_gt_i32_e32 vcc_lo, 16, v1
	v_lshrrev_b32_e32 v2, 24, v2
	s_wait_alu 0xfffd
	v_dual_cndmask_b32 v5, 7, v5 :: v_dual_lshlrev_b32 v6, 3, v6
	s_delay_alu instid0(VALU_DEP_2) | instskip(NEXT) | instid1(VALU_DEP_2)
	v_and_b32_e32 v2, 0x80, v2
	v_and_b32_e32 v6, 0xf8, v6
	s_delay_alu instid0(VALU_DEP_3) | instskip(SKIP_1) | instid1(VALU_DEP_2)
	v_and_b32_e32 v7, 7, v5
	v_or_b32_e32 v1, v1, v5
	v_or3_b32 v2, v2, v6, v7
	s_delay_alu instid0(VALU_DEP_2) | instskip(NEXT) | instid1(VALU_DEP_2)
	v_cmp_ne_u32_e32 vcc_lo, 0, v1
	v_lshlrev_b32_e32 v2, 16, v2
	s_wait_alu 0xfffd
	s_delay_alu instid0(VALU_DEP_1)
	v_cndmask_b32_e32 v45, 0, v2, vcc_lo
.LBB4_791:
	s_wait_alu 0xfffe
	s_or_b32 exec_lo, exec_lo, s6
.LBB4_792:
	s_wait_alu 0xfffe
	s_or_b32 exec_lo, exec_lo, s3
	v_and_b32_e32 v1, 0x7f800000, v3
	v_bfrev_b32_e32 v46, 1
	s_mov_b32 s3, exec_lo
	s_delay_alu instid0(VALU_DEP_2)
	v_cmpx_ne_u32_e32 0x7f800000, v1
	s_cbranch_execz .LBB4_800
; %bb.793:
	v_mov_b32_e32 v46, 0
	s_mov_b32 s6, exec_lo
	v_cmpx_ne_u32_e32 0, v3
	s_cbranch_execz .LBB4_799
; %bb.794:
	v_bfe_u32 v1, v3, 23, 8
	s_delay_alu instid0(VALU_DEP_1) | instskip(SKIP_2) | instid1(VALU_DEP_2)
	v_sub_nc_u32_e32 v5, 0x78, v1
	v_cmp_gt_u32_e32 vcc_lo, 0x79, v1
	s_wait_alu 0xfffd
	v_dual_cndmask_b32 v5, 0, v5 :: v_dual_and_b32 v2, 0x7fffff, v3
	s_delay_alu instid0(VALU_DEP_1) | instskip(SKIP_2) | instid1(VALU_DEP_2)
	v_or_b32_e32 v6, 0x800000, v2
	v_cmp_eq_u32_e32 vcc_lo, 0, v1
	s_wait_alu 0xfffd
	v_dual_cndmask_b32 v2, v6, v2 :: v_dual_add_nc_u32 v1, 0xffffff89, v1
	v_cndmask_b32_e64 v5, v5, 0x77, vcc_lo
	s_delay_alu instid0(VALU_DEP_2) | instskip(NEXT) | instid1(VALU_DEP_2)
	v_cndmask_b32_e64 v1, v1, 0xffffff8a, vcc_lo
	v_lshrrev_b32_e32 v7, v5, v2
	v_lshl_add_u32 v6, 0x100000, v5, -1
	v_lshlrev_b32_e64 v41, v5, 0x80000
	s_delay_alu instid0(VALU_DEP_4) | instskip(NEXT) | instid1(VALU_DEP_4)
	v_add_nc_u32_e32 v5, v5, v1
	v_bfe_u32 v40, v7, 20, 1
	s_delay_alu instid0(VALU_DEP_4) | instskip(NEXT) | instid1(VALU_DEP_2)
	v_and_b32_e32 v2, v6, v2
	v_add_nc_u32_e32 v6, -1, v40
	s_delay_alu instid0(VALU_DEP_2) | instskip(SKIP_1) | instid1(VALU_DEP_1)
	v_cmp_eq_u32_e64 s0, v2, v41
	s_wait_alu 0xf1ff
	v_cndmask_b32_e64 v2, 0, v6, s0
	v_lshrrev_b32_e32 v6, 23, v7
	s_mov_b32 s0, exec_lo
	s_delay_alu instid0(VALU_DEP_2) | instskip(NEXT) | instid1(VALU_DEP_2)
	v_add_nc_u32_e32 v2, v2, v7
	v_xor_b32_e32 v6, 1, v6
	s_delay_alu instid0(VALU_DEP_2) | instskip(NEXT) | instid1(VALU_DEP_1)
	v_and_b32_e32 v1, 0xfffff, v2
	v_add_nc_u32_e32 v2, v1, v7
                                        ; implicit-def: $vgpr1
	s_delay_alu instid0(VALU_DEP_3)
	v_cmpx_ne_u32_e64 v5, v6
	s_wait_alu 0xfffe
	s_xor_b32 s0, exec_lo, s0
; %bb.795:
	s_delay_alu instid0(VALU_DEP_2) | instskip(SKIP_3) | instid1(VALU_DEP_2)
	v_cmp_lt_u32_e32 vcc_lo, 0xffffff, v2
	v_sub_nc_u32_e32 v1, v5, v6
	s_wait_alu 0xfffd
	v_cndmask_b32_e64 v5, 0, 1, vcc_lo
	v_add_co_ci_u32_e64 v1, null, 0, v1, vcc_lo
	s_delay_alu instid0(VALU_DEP_2)
	v_lshrrev_b32_e32 v2, v5, v2
; %bb.796:
	s_wait_alu 0xfffe
	s_and_not1_saveexec_b32 s0, s0
; %bb.797:
	s_delay_alu instid0(VALU_DEP_1)
	v_bfe_u32 v1, v2, 23, 1
; %bb.798:
	s_wait_alu 0xfffe
	s_or_b32 exec_lo, exec_lo, s0
	v_lshrrev_b32_e32 v2, 20, v2
	s_delay_alu instid0(VALU_DEP_2) | instskip(SKIP_3) | instid1(VALU_DEP_2)
	v_cmp_gt_i32_e32 vcc_lo, 16, v1
	v_lshrrev_b32_e32 v3, 24, v3
	v_min_i32_e32 v5, 15, v1
	s_wait_alu 0xfffd
	v_dual_cndmask_b32 v2, 7, v2 :: v_dual_and_b32 v3, 0x80, v3
	s_delay_alu instid0(VALU_DEP_1) | instskip(SKIP_1) | instid1(VALU_DEP_2)
	v_or_b32_e32 v1, v1, v2
	v_and_b32_e32 v6, 7, v2
	v_cmp_ne_u32_e32 vcc_lo, 0, v1
	v_lshlrev_b32_e32 v5, 3, v5
	s_delay_alu instid0(VALU_DEP_1) | instskip(NEXT) | instid1(VALU_DEP_1)
	v_or3_b32 v3, v3, v5, v6
	v_lshlrev_b32_e32 v2, 24, v3
	s_wait_alu 0xfffd
	s_delay_alu instid0(VALU_DEP_1)
	v_cndmask_b32_e32 v46, 0, v2, vcc_lo
.LBB4_799:
	s_wait_alu 0xfffe
	s_or_b32 exec_lo, exec_lo, s6
.LBB4_800:
	s_wait_alu 0xfffe
	s_or_b32 exec_lo, exec_lo, s3
	ds_load_b128 v[40:43], v92 offset:16
	v_or_b32_e32 v47, v0, v4
	v_wmma_f32_16x16x16_fp8_fp8 v[0:7], v[36:37], v[28:29], 0
	v_dual_mov_b32 v37, 0x80 :: v_dual_add_nc_u32 v36, s2, v44
	s_delay_alu instid0(VALU_DEP_3)
	v_or3_b32 v44, v45, v47, v46
	s_mov_b32 s6, s1
	s_mov_b32 s3, exec_lo
	buffer_store_b32 v44, v36, s[4:7], null offen
	s_wait_dscnt 0x0
	v_and_b32_e32 v48, 0x7f800000, v40
	s_delay_alu instid0(VALU_DEP_1)
	v_cmpx_ne_u32_e32 0x7f800000, v48
	s_cbranch_execz .LBB4_808
; %bb.801:
	v_mov_b32_e32 v37, 0
	s_mov_b32 s6, exec_lo
	v_cmpx_ne_u32_e32 0, v40
	s_cbranch_execz .LBB4_807
; %bb.802:
	v_bfe_u32 v37, v40, 23, 8
	s_delay_alu instid0(VALU_DEP_1) | instskip(SKIP_2) | instid1(VALU_DEP_2)
	v_sub_nc_u32_e32 v45, 0x78, v37
	v_cmp_gt_u32_e32 vcc_lo, 0x79, v37
	s_wait_alu 0xfffd
	v_dual_cndmask_b32 v45, 0, v45 :: v_dual_and_b32 v44, 0x7fffff, v40
	s_delay_alu instid0(VALU_DEP_1) | instskip(SKIP_2) | instid1(VALU_DEP_2)
	v_or_b32_e32 v46, 0x800000, v44
	v_cmp_eq_u32_e32 vcc_lo, 0, v37
	s_wait_alu 0xfffd
	v_dual_cndmask_b32 v44, v46, v44 :: v_dual_add_nc_u32 v37, 0xffffff89, v37
	v_cndmask_b32_e64 v45, v45, 0x77, vcc_lo
	s_delay_alu instid0(VALU_DEP_2) | instskip(NEXT) | instid1(VALU_DEP_2)
	v_cndmask_b32_e64 v37, v37, 0xffffff8a, vcc_lo
	v_lshrrev_b32_e32 v47, v45, v44
	v_lshl_add_u32 v46, 0x100000, v45, -1
	v_lshlrev_b32_e64 v49, v45, 0x80000
	s_delay_alu instid0(VALU_DEP_4) | instskip(NEXT) | instid1(VALU_DEP_4)
	v_add_nc_u32_e32 v45, v45, v37
	v_bfe_u32 v48, v47, 20, 1
	s_delay_alu instid0(VALU_DEP_4) | instskip(NEXT) | instid1(VALU_DEP_2)
	v_and_b32_e32 v44, v46, v44
	v_add_nc_u32_e32 v46, -1, v48
	s_delay_alu instid0(VALU_DEP_2) | instskip(SKIP_1) | instid1(VALU_DEP_1)
	v_cmp_eq_u32_e64 s0, v44, v49
	s_wait_alu 0xf1ff
	v_cndmask_b32_e64 v44, 0, v46, s0
	v_lshrrev_b32_e32 v46, 23, v47
	s_mov_b32 s0, exec_lo
	s_delay_alu instid0(VALU_DEP_2) | instskip(NEXT) | instid1(VALU_DEP_2)
	v_add_nc_u32_e32 v44, v44, v47
	v_xor_b32_e32 v46, 1, v46
	s_delay_alu instid0(VALU_DEP_2) | instskip(NEXT) | instid1(VALU_DEP_1)
	v_and_b32_e32 v37, 0xfffff, v44
	v_add_nc_u32_e32 v44, v37, v47
                                        ; implicit-def: $vgpr37
	s_delay_alu instid0(VALU_DEP_3)
	v_cmpx_ne_u32_e64 v45, v46
	s_wait_alu 0xfffe
	s_xor_b32 s0, exec_lo, s0
; %bb.803:
	s_delay_alu instid0(VALU_DEP_2) | instskip(SKIP_3) | instid1(VALU_DEP_2)
	v_cmp_lt_u32_e32 vcc_lo, 0xffffff, v44
	v_sub_nc_u32_e32 v37, v45, v46
	s_wait_alu 0xfffd
	v_cndmask_b32_e64 v45, 0, 1, vcc_lo
	v_add_co_ci_u32_e64 v37, null, 0, v37, vcc_lo
	s_delay_alu instid0(VALU_DEP_2)
	v_lshrrev_b32_e32 v44, v45, v44
; %bb.804:
	s_wait_alu 0xfffe
	s_and_not1_saveexec_b32 s0, s0
; %bb.805:
	s_delay_alu instid0(VALU_DEP_1)
	v_bfe_u32 v37, v44, 23, 1
; %bb.806:
	s_wait_alu 0xfffe
	s_or_b32 exec_lo, exec_lo, s0
	v_lshrrev_b32_e32 v44, 20, v44
	s_delay_alu instid0(VALU_DEP_2) | instskip(SKIP_3) | instid1(VALU_DEP_3)
	v_min_i32_e32 v45, 15, v37
	v_cmp_gt_i32_e32 vcc_lo, 16, v37
	v_lshrrev_b32_e32 v40, 24, v40
	s_wait_alu 0xfffd
	v_dual_cndmask_b32 v44, 7, v44 :: v_dual_lshlrev_b32 v45, 3, v45
	s_delay_alu instid0(VALU_DEP_2) | instskip(NEXT) | instid1(VALU_DEP_2)
	v_and_b32_e32 v40, 0x80, v40
	v_and_b32_e32 v45, 0xf8, v45
	s_delay_alu instid0(VALU_DEP_3) | instskip(SKIP_1) | instid1(VALU_DEP_2)
	v_and_b32_e32 v46, 7, v44
	v_or_b32_e32 v37, v37, v44
	v_or3_b32 v40, v45, v40, v46
	s_delay_alu instid0(VALU_DEP_2) | instskip(SKIP_1) | instid1(VALU_DEP_2)
	v_cmp_ne_u32_e32 vcc_lo, 0, v37
	s_wait_alu 0xfffd
	v_cndmask_b32_e32 v37, 0, v40, vcc_lo
.LBB4_807:
	s_wait_alu 0xfffe
	s_or_b32 exec_lo, exec_lo, s6
.LBB4_808:
	s_delay_alu instid0(SALU_CYCLE_1) | instskip(SKIP_4) | instid1(VALU_DEP_3)
	s_or_b32 exec_lo, exec_lo, s3
	v_and_b32_e32 v40, 0x7f800000, v41
	v_wmma_f32_16x16x16_fp8_fp8 v[0:7], v[38:39], v[30:31], v[0:7]
	v_mov_b32_e32 v38, 0x8000
	s_mov_b32 s3, exec_lo
	v_cmpx_ne_u32_e32 0x7f800000, v40
	s_cbranch_execz .LBB4_816
; %bb.809:
	v_mov_b32_e32 v38, 0
	s_mov_b32 s6, exec_lo
	v_cmpx_ne_u32_e32 0, v41
	s_cbranch_execz .LBB4_815
; %bb.810:
	v_bfe_u32 v38, v41, 23, 8
	s_delay_alu instid0(VALU_DEP_1) | instskip(SKIP_2) | instid1(VALU_DEP_2)
	v_sub_nc_u32_e32 v40, 0x78, v38
	v_cmp_gt_u32_e32 vcc_lo, 0x79, v38
	s_wait_alu 0xfffd
	v_dual_cndmask_b32 v40, 0, v40 :: v_dual_and_b32 v39, 0x7fffff, v41
	s_delay_alu instid0(VALU_DEP_1)
	v_or_b32_e32 v44, 0x800000, v39
	v_cmp_eq_u32_e32 vcc_lo, 0, v38
	v_add_nc_u32_e32 v38, 0xffffff89, v38
	s_wait_alu 0xfffd
	v_cndmask_b32_e64 v40, v40, 0x77, vcc_lo
	v_cndmask_b32_e32 v39, v44, v39, vcc_lo
	s_delay_alu instid0(VALU_DEP_3) | instskip(NEXT) | instid1(VALU_DEP_3)
	v_cndmask_b32_e64 v38, v38, 0xffffff8a, vcc_lo
	v_lshl_add_u32 v44, 0x100000, v40, -1
	s_delay_alu instid0(VALU_DEP_3) | instskip(SKIP_1) | instid1(VALU_DEP_4)
	v_lshrrev_b32_e32 v45, v40, v39
	v_lshlrev_b32_e64 v47, v40, 0x80000
	v_add_nc_u32_e32 v40, v40, v38
	s_delay_alu instid0(VALU_DEP_4) | instskip(NEXT) | instid1(VALU_DEP_4)
	v_and_b32_e32 v39, v44, v39
	v_bfe_u32 v46, v45, 20, 1
	s_delay_alu instid0(VALU_DEP_2) | instskip(NEXT) | instid1(VALU_DEP_2)
	v_cmp_eq_u32_e64 s0, v39, v47
	v_add_nc_u32_e32 v44, -1, v46
	s_wait_alu 0xf1ff
	s_delay_alu instid0(VALU_DEP_1) | instskip(SKIP_2) | instid1(VALU_DEP_2)
	v_cndmask_b32_e64 v39, 0, v44, s0
	v_lshrrev_b32_e32 v44, 23, v45
	s_mov_b32 s0, exec_lo
	v_add_nc_u32_e32 v39, v39, v45
	s_delay_alu instid0(VALU_DEP_2) | instskip(NEXT) | instid1(VALU_DEP_2)
	v_xor_b32_e32 v44, 1, v44
	v_and_b32_e32 v38, 0xfffff, v39
	s_delay_alu instid0(VALU_DEP_1) | instskip(NEXT) | instid1(VALU_DEP_3)
	v_add_nc_u32_e32 v39, v38, v45
                                        ; implicit-def: $vgpr38
	v_cmpx_ne_u32_e64 v40, v44
	s_wait_alu 0xfffe
	s_xor_b32 s0, exec_lo, s0
; %bb.811:
	s_delay_alu instid0(VALU_DEP_2) | instskip(SKIP_3) | instid1(VALU_DEP_2)
	v_cmp_lt_u32_e32 vcc_lo, 0xffffff, v39
	v_sub_nc_u32_e32 v38, v40, v44
	s_wait_alu 0xfffd
	v_cndmask_b32_e64 v40, 0, 1, vcc_lo
	v_add_co_ci_u32_e64 v38, null, 0, v38, vcc_lo
	s_delay_alu instid0(VALU_DEP_2)
	v_lshrrev_b32_e32 v39, v40, v39
; %bb.812:
	s_wait_alu 0xfffe
	s_and_not1_saveexec_b32 s0, s0
; %bb.813:
	s_delay_alu instid0(VALU_DEP_1)
	v_bfe_u32 v38, v39, 23, 1
; %bb.814:
	s_wait_alu 0xfffe
	s_or_b32 exec_lo, exec_lo, s0
	v_lshrrev_b32_e32 v39, 20, v39
	s_delay_alu instid0(VALU_DEP_2) | instskip(SKIP_3) | instid1(VALU_DEP_2)
	v_cmp_gt_i32_e32 vcc_lo, 16, v38
	v_min_i32_e32 v40, 15, v38
	v_lshrrev_b32_e32 v41, 24, v41
	s_wait_alu 0xfffd
	v_dual_cndmask_b32 v39, 7, v39 :: v_dual_lshlrev_b32 v40, 3, v40
	s_delay_alu instid0(VALU_DEP_1) | instskip(SKIP_1) | instid1(VALU_DEP_3)
	v_or_b32_e32 v38, v38, v39
	v_and_b32_e32 v44, 7, v39
	v_and_b32_e32 v40, 0xf8, v40
	s_delay_alu instid0(VALU_DEP_3) | instskip(SKIP_1) | instid1(VALU_DEP_1)
	v_cmp_ne_u32_e32 vcc_lo, 0, v38
	v_and_b32_e32 v41, 0x80, v41
	v_or3_b32 v40, v41, v40, v44
	s_delay_alu instid0(VALU_DEP_1) | instskip(SKIP_1) | instid1(VALU_DEP_1)
	v_lshlrev_b32_e32 v39, 8, v40
	s_wait_alu 0xfffd
	v_cndmask_b32_e32 v38, 0, v39, vcc_lo
.LBB4_815:
	s_wait_alu 0xfffe
	s_or_b32 exec_lo, exec_lo, s6
.LBB4_816:
	s_wait_alu 0xfffe
	s_or_b32 exec_lo, exec_lo, s3
	v_and_b32_e32 v39, 0x7f800000, v42
	v_wmma_f32_16x16x16_fp8_fp8 v[0:7], v[32:33], v[24:25], v[0:7]
	v_mov_b32_e32 v32, 0x800000
	s_mov_b32 s3, exec_lo
	s_delay_alu instid0(VALU_DEP_3)
	v_cmpx_ne_u32_e32 0x7f800000, v39
	s_cbranch_execz .LBB4_824
; %bb.817:
	v_mov_b32_e32 v32, 0
	s_mov_b32 s6, exec_lo
	v_cmpx_ne_u32_e32 0, v42
	s_cbranch_execz .LBB4_823
; %bb.818:
	v_bfe_u32 v32, v42, 23, 8
	v_and_b32_e32 v33, 0x7fffff, v42
	s_delay_alu instid0(VALU_DEP_2) | instskip(SKIP_1) | instid1(VALU_DEP_3)
	v_sub_nc_u32_e32 v39, 0x78, v32
	v_cmp_gt_u32_e32 vcc_lo, 0x79, v32
	v_or_b32_e32 v40, 0x800000, v33
	s_wait_alu 0xfffd
	s_delay_alu instid0(VALU_DEP_3) | instskip(SKIP_3) | instid1(VALU_DEP_3)
	v_cndmask_b32_e32 v39, 0, v39, vcc_lo
	v_cmp_eq_u32_e32 vcc_lo, 0, v32
	s_wait_alu 0xfffd
	v_dual_cndmask_b32 v33, v40, v33 :: v_dual_add_nc_u32 v32, 0xffffff89, v32
	v_cndmask_b32_e64 v39, v39, 0x77, vcc_lo
	s_delay_alu instid0(VALU_DEP_2) | instskip(NEXT) | instid1(VALU_DEP_2)
	v_cndmask_b32_e64 v32, v32, 0xffffff8a, vcc_lo
	v_lshrrev_b32_e32 v41, v39, v33
	v_lshl_add_u32 v40, 0x100000, v39, -1
	v_lshlrev_b32_e64 v45, v39, 0x80000
	s_delay_alu instid0(VALU_DEP_4) | instskip(NEXT) | instid1(VALU_DEP_4)
	v_add_nc_u32_e32 v39, v39, v32
	v_bfe_u32 v44, v41, 20, 1
	s_delay_alu instid0(VALU_DEP_4) | instskip(NEXT) | instid1(VALU_DEP_2)
	v_and_b32_e32 v33, v40, v33
	v_add_nc_u32_e32 v40, -1, v44
	s_delay_alu instid0(VALU_DEP_2) | instskip(SKIP_1) | instid1(VALU_DEP_1)
	v_cmp_eq_u32_e64 s0, v33, v45
	s_wait_alu 0xf1ff
	v_cndmask_b32_e64 v33, 0, v40, s0
	v_lshrrev_b32_e32 v40, 23, v41
	s_mov_b32 s0, exec_lo
	s_delay_alu instid0(VALU_DEP_2) | instskip(NEXT) | instid1(VALU_DEP_2)
	v_add_nc_u32_e32 v33, v33, v41
	v_xor_b32_e32 v40, 1, v40
	s_delay_alu instid0(VALU_DEP_2) | instskip(NEXT) | instid1(VALU_DEP_1)
	v_and_b32_e32 v32, 0xfffff, v33
	v_add_nc_u32_e32 v33, v32, v41
                                        ; implicit-def: $vgpr32
	s_delay_alu instid0(VALU_DEP_3)
	v_cmpx_ne_u32_e64 v39, v40
	s_wait_alu 0xfffe
	s_xor_b32 s0, exec_lo, s0
; %bb.819:
	s_delay_alu instid0(VALU_DEP_2) | instskip(SKIP_3) | instid1(VALU_DEP_2)
	v_cmp_lt_u32_e32 vcc_lo, 0xffffff, v33
	v_sub_nc_u32_e32 v32, v39, v40
	s_wait_alu 0xfffd
	v_cndmask_b32_e64 v39, 0, 1, vcc_lo
	v_add_co_ci_u32_e64 v32, null, 0, v32, vcc_lo
	s_delay_alu instid0(VALU_DEP_2)
	v_lshrrev_b32_e32 v33, v39, v33
; %bb.820:
	s_wait_alu 0xfffe
	s_and_not1_saveexec_b32 s0, s0
; %bb.821:
	s_delay_alu instid0(VALU_DEP_1)
	v_bfe_u32 v32, v33, 23, 1
; %bb.822:
	s_wait_alu 0xfffe
	s_or_b32 exec_lo, exec_lo, s0
	v_lshrrev_b32_e32 v33, 20, v33
	s_delay_alu instid0(VALU_DEP_2) | instskip(SKIP_3) | instid1(VALU_DEP_2)
	v_cmp_gt_i32_e32 vcc_lo, 16, v32
	v_lshrrev_b32_e32 v40, 24, v42
	v_min_i32_e32 v39, 15, v32
	s_wait_alu 0xfffd
	v_dual_cndmask_b32 v33, 7, v33 :: v_dual_and_b32 v40, 0x80, v40
	s_delay_alu instid0(VALU_DEP_1) | instskip(SKIP_1) | instid1(VALU_DEP_2)
	v_or_b32_e32 v32, v32, v33
	v_and_b32_e32 v41, 7, v33
	v_cmp_ne_u32_e32 vcc_lo, 0, v32
	v_lshlrev_b32_e32 v39, 3, v39
	s_delay_alu instid0(VALU_DEP_1) | instskip(NEXT) | instid1(VALU_DEP_1)
	v_and_b32_e32 v39, 0xf8, v39
	v_or3_b32 v39, v40, v39, v41
	s_delay_alu instid0(VALU_DEP_1) | instskip(SKIP_1) | instid1(VALU_DEP_1)
	v_lshlrev_b32_e32 v33, 16, v39
	s_wait_alu 0xfffd
	v_cndmask_b32_e32 v32, 0, v33, vcc_lo
.LBB4_823:
	s_wait_alu 0xfffe
	s_or_b32 exec_lo, exec_lo, s6
.LBB4_824:
	s_wait_alu 0xfffe
	s_or_b32 exec_lo, exec_lo, s3
	v_and_b32_e32 v33, 0x7f800000, v43
	v_wmma_f32_16x16x16_fp8_fp8 v[0:7], v[34:35], v[26:27], v[0:7]
	s_delay_alu instid0(VALU_DEP_2)
	v_cmp_ne_u32_e32 vcc_lo, 0x7f800000, v33
	v_bfrev_b32_e32 v33, 1
	s_and_saveexec_b32 s3, vcc_lo
	s_cbranch_execz .LBB4_832
; %bb.825:
	v_mov_b32_e32 v33, 0
	s_mov_b32 s6, exec_lo
	v_cmpx_ne_u32_e32 0, v43
	s_cbranch_execz .LBB4_831
; %bb.826:
	v_bfe_u32 v33, v43, 23, 8
	v_and_b32_e32 v34, 0x7fffff, v43
	s_delay_alu instid0(VALU_DEP_2) | instskip(SKIP_1) | instid1(VALU_DEP_3)
	v_sub_nc_u32_e32 v35, 0x78, v33
	v_cmp_gt_u32_e32 vcc_lo, 0x79, v33
	v_or_b32_e32 v39, 0x800000, v34
	s_wait_alu 0xfffd
	s_delay_alu instid0(VALU_DEP_3) | instskip(SKIP_3) | instid1(VALU_DEP_3)
	v_cndmask_b32_e32 v35, 0, v35, vcc_lo
	v_cmp_eq_u32_e32 vcc_lo, 0, v33
	s_wait_alu 0xfffd
	v_dual_cndmask_b32 v34, v39, v34 :: v_dual_add_nc_u32 v33, 0xffffff89, v33
	v_cndmask_b32_e64 v35, v35, 0x77, vcc_lo
	s_delay_alu instid0(VALU_DEP_2) | instskip(NEXT) | instid1(VALU_DEP_2)
	v_cndmask_b32_e64 v33, v33, 0xffffff8a, vcc_lo
	v_lshrrev_b32_e32 v40, v35, v34
	v_lshl_add_u32 v39, 0x100000, v35, -1
	v_lshlrev_b32_e64 v42, v35, 0x80000
	s_delay_alu instid0(VALU_DEP_4) | instskip(NEXT) | instid1(VALU_DEP_4)
	v_add_nc_u32_e32 v35, v35, v33
	v_bfe_u32 v41, v40, 20, 1
	s_delay_alu instid0(VALU_DEP_4) | instskip(NEXT) | instid1(VALU_DEP_2)
	v_and_b32_e32 v34, v39, v34
	v_add_nc_u32_e32 v39, -1, v41
	s_delay_alu instid0(VALU_DEP_2) | instskip(SKIP_1) | instid1(VALU_DEP_1)
	v_cmp_eq_u32_e64 s0, v34, v42
	s_wait_alu 0xf1ff
	v_cndmask_b32_e64 v34, 0, v39, s0
	v_lshrrev_b32_e32 v39, 23, v40
	s_mov_b32 s0, exec_lo
	s_delay_alu instid0(VALU_DEP_2) | instskip(NEXT) | instid1(VALU_DEP_2)
	v_add_nc_u32_e32 v34, v34, v40
	v_xor_b32_e32 v39, 1, v39
	s_delay_alu instid0(VALU_DEP_2) | instskip(NEXT) | instid1(VALU_DEP_1)
	v_and_b32_e32 v33, 0xfffff, v34
	v_add_nc_u32_e32 v34, v33, v40
                                        ; implicit-def: $vgpr33
	s_delay_alu instid0(VALU_DEP_3)
	v_cmpx_ne_u32_e64 v35, v39
	s_wait_alu 0xfffe
	s_xor_b32 s0, exec_lo, s0
; %bb.827:
	s_delay_alu instid0(VALU_DEP_2) | instskip(SKIP_3) | instid1(VALU_DEP_2)
	v_cmp_lt_u32_e32 vcc_lo, 0xffffff, v34
	v_sub_nc_u32_e32 v33, v35, v39
	s_wait_alu 0xfffd
	v_cndmask_b32_e64 v35, 0, 1, vcc_lo
	v_add_co_ci_u32_e64 v33, null, 0, v33, vcc_lo
	s_delay_alu instid0(VALU_DEP_2)
	v_lshrrev_b32_e32 v34, v35, v34
; %bb.828:
	s_wait_alu 0xfffe
	s_and_not1_saveexec_b32 s0, s0
; %bb.829:
	s_delay_alu instid0(VALU_DEP_1)
	v_bfe_u32 v33, v34, 23, 1
; %bb.830:
	s_wait_alu 0xfffe
	s_or_b32 exec_lo, exec_lo, s0
	v_lshrrev_b32_e32 v34, 20, v34
	s_delay_alu instid0(VALU_DEP_2) | instskip(SKIP_3) | instid1(VALU_DEP_2)
	v_cmp_gt_i32_e32 vcc_lo, 16, v33
	v_lshrrev_b32_e32 v35, 24, v43
	v_min_i32_e32 v39, 15, v33
	s_wait_alu 0xfffd
	v_dual_cndmask_b32 v34, 7, v34 :: v_dual_and_b32 v35, 0x80, v35
	s_delay_alu instid0(VALU_DEP_2) | instskip(NEXT) | instid1(VALU_DEP_2)
	v_lshlrev_b32_e32 v39, 3, v39
	v_and_b32_e32 v40, 7, v34
	v_or_b32_e32 v33, v33, v34
	s_delay_alu instid0(VALU_DEP_2) | instskip(NEXT) | instid1(VALU_DEP_2)
	v_or3_b32 v35, v35, v39, v40
	v_cmp_ne_u32_e32 vcc_lo, 0, v33
	s_delay_alu instid0(VALU_DEP_2) | instskip(SKIP_1) | instid1(VALU_DEP_1)
	v_lshlrev_b32_e32 v34, 24, v35
	s_wait_alu 0xfffd
	v_cndmask_b32_e32 v33, 0, v34, vcc_lo
.LBB4_831:
	s_wait_alu 0xfffe
	s_or_b32 exec_lo, exec_lo, s6
.LBB4_832:
	s_wait_alu 0xfffe
	s_or_b32 exec_lo, exec_lo, s3
	v_or_b32_e32 v34, v38, v37
	s_mov_b32 s6, s1
	s_delay_alu instid0(VALU_DEP_1)
	v_or3_b32 v32, v32, v34, v33
	buffer_store_b32 v32, v36, s[4:7], null offen offset:4
	s_wait_dscnt 0x0
	s_barrier_signal -1
	s_barrier_wait -1
	ds_store_2addr_stride64_b32 v93, v0, v1 offset1:1
	ds_store_2addr_stride64_b32 v93, v2, v3 offset0:2 offset1:3
	ds_store_2addr_stride64_b32 v93, v4, v5 offset0:4 offset1:5
	;; [unrolled: 1-line block ×3, first 2 shown]
	s_wait_dscnt 0x0
	s_barrier_signal -1
	s_barrier_wait -1
	ds_load_b128 v[0:3], v92
	s_wait_dscnt 0x0
	v_and_b32_e32 v4, 0x7f800000, v0
	s_delay_alu instid0(VALU_DEP_1)
	v_cmp_ne_u32_e32 vcc_lo, 0x7f800000, v4
	v_mov_b32_e32 v4, 0x80
	s_and_saveexec_b32 s3, vcc_lo
	s_cbranch_execz .LBB4_840
; %bb.833:
	v_mov_b32_e32 v4, 0
	s_mov_b32 s6, exec_lo
	v_cmpx_ne_u32_e32 0, v0
	s_cbranch_execz .LBB4_839
; %bb.834:
	v_bfe_u32 v4, v0, 23, 8
	s_delay_alu instid0(VALU_DEP_1) | instskip(SKIP_2) | instid1(VALU_DEP_2)
	v_sub_nc_u32_e32 v6, 0x78, v4
	v_cmp_gt_u32_e32 vcc_lo, 0x79, v4
	s_wait_alu 0xfffd
	v_dual_cndmask_b32 v6, 0, v6 :: v_dual_and_b32 v5, 0x7fffff, v0
	s_delay_alu instid0(VALU_DEP_1) | instskip(SKIP_2) | instid1(VALU_DEP_2)
	v_or_b32_e32 v7, 0x800000, v5
	v_cmp_eq_u32_e32 vcc_lo, 0, v4
	s_wait_alu 0xfffd
	v_dual_cndmask_b32 v5, v7, v5 :: v_dual_add_nc_u32 v4, 0xffffff89, v4
	v_cndmask_b32_e64 v6, v6, 0x77, vcc_lo
	s_delay_alu instid0(VALU_DEP_2) | instskip(NEXT) | instid1(VALU_DEP_2)
	v_cndmask_b32_e64 v4, v4, 0xffffff8a, vcc_lo
	v_lshrrev_b32_e32 v32, v6, v5
	v_lshl_add_u32 v7, 0x100000, v6, -1
	v_lshlrev_b32_e64 v34, v6, 0x80000
	s_delay_alu instid0(VALU_DEP_4) | instskip(NEXT) | instid1(VALU_DEP_4)
	v_add_nc_u32_e32 v6, v6, v4
	v_bfe_u32 v33, v32, 20, 1
	s_delay_alu instid0(VALU_DEP_4) | instskip(NEXT) | instid1(VALU_DEP_2)
	v_and_b32_e32 v5, v7, v5
	v_add_nc_u32_e32 v7, -1, v33
	s_delay_alu instid0(VALU_DEP_2) | instskip(SKIP_1) | instid1(VALU_DEP_1)
	v_cmp_eq_u32_e64 s0, v5, v34
	s_wait_alu 0xf1ff
	v_cndmask_b32_e64 v5, 0, v7, s0
	v_lshrrev_b32_e32 v7, 23, v32
	s_mov_b32 s0, exec_lo
	s_delay_alu instid0(VALU_DEP_2) | instskip(NEXT) | instid1(VALU_DEP_2)
	v_add_nc_u32_e32 v5, v5, v32
	v_xor_b32_e32 v7, 1, v7
	s_delay_alu instid0(VALU_DEP_2) | instskip(NEXT) | instid1(VALU_DEP_1)
	v_and_b32_e32 v4, 0xfffff, v5
	v_add_nc_u32_e32 v5, v4, v32
                                        ; implicit-def: $vgpr4
	s_delay_alu instid0(VALU_DEP_3)
	v_cmpx_ne_u32_e64 v6, v7
	s_wait_alu 0xfffe
	s_xor_b32 s0, exec_lo, s0
; %bb.835:
	s_delay_alu instid0(VALU_DEP_2) | instskip(SKIP_3) | instid1(VALU_DEP_2)
	v_cmp_lt_u32_e32 vcc_lo, 0xffffff, v5
	v_sub_nc_u32_e32 v4, v6, v7
	s_wait_alu 0xfffd
	v_cndmask_b32_e64 v6, 0, 1, vcc_lo
	v_add_co_ci_u32_e64 v4, null, 0, v4, vcc_lo
	s_delay_alu instid0(VALU_DEP_2)
	v_lshrrev_b32_e32 v5, v6, v5
; %bb.836:
	s_wait_alu 0xfffe
	s_and_not1_saveexec_b32 s0, s0
; %bb.837:
	s_delay_alu instid0(VALU_DEP_1)
	v_bfe_u32 v4, v5, 23, 1
; %bb.838:
	s_wait_alu 0xfffe
	s_or_b32 exec_lo, exec_lo, s0
	v_lshrrev_b32_e32 v5, 20, v5
	s_delay_alu instid0(VALU_DEP_2) | instskip(SKIP_3) | instid1(VALU_DEP_2)
	v_cmp_gt_i32_e32 vcc_lo, 16, v4
	v_min_i32_e32 v6, 15, v4
	v_lshrrev_b32_e32 v0, 24, v0
	s_wait_alu 0xfffd
	v_dual_cndmask_b32 v5, 7, v5 :: v_dual_lshlrev_b32 v6, 3, v6
	s_delay_alu instid0(VALU_DEP_2) | instskip(NEXT) | instid1(VALU_DEP_2)
	v_and_b32_e32 v0, 0x80, v0
	v_or_b32_e32 v4, v4, v5
	s_delay_alu instid0(VALU_DEP_3) | instskip(NEXT) | instid1(VALU_DEP_2)
	v_and_b32_e32 v6, 0xf8, v6
	v_cmp_ne_u32_e32 vcc_lo, 0, v4
	v_and_b32_e32 v7, 7, v5
	s_delay_alu instid0(VALU_DEP_1) | instskip(SKIP_1) | instid1(VALU_DEP_1)
	v_or3_b32 v0, v6, v0, v7
	s_wait_alu 0xfffd
	v_cndmask_b32_e32 v4, 0, v0, vcc_lo
.LBB4_839:
	s_wait_alu 0xfffe
	s_or_b32 exec_lo, exec_lo, s6
.LBB4_840:
	s_wait_alu 0xfffe
	s_or_b32 exec_lo, exec_lo, s3
	v_and_b32_e32 v0, 0x7f800000, v1
	s_delay_alu instid0(VALU_DEP_1)
	v_cmp_ne_u32_e32 vcc_lo, 0x7f800000, v0
	v_mov_b32_e32 v0, 0x8000
	s_and_saveexec_b32 s3, vcc_lo
	s_cbranch_execz .LBB4_848
; %bb.841:
	v_mov_b32_e32 v0, 0
	s_mov_b32 s6, exec_lo
	v_cmpx_ne_u32_e32 0, v1
	s_cbranch_execz .LBB4_847
; %bb.842:
	v_bfe_u32 v0, v1, 23, 8
	s_delay_alu instid0(VALU_DEP_1) | instskip(SKIP_2) | instid1(VALU_DEP_2)
	v_sub_nc_u32_e32 v6, 0x78, v0
	v_cmp_gt_u32_e32 vcc_lo, 0x79, v0
	s_wait_alu 0xfffd
	v_dual_cndmask_b32 v6, 0, v6 :: v_dual_and_b32 v5, 0x7fffff, v1
	s_delay_alu instid0(VALU_DEP_1) | instskip(SKIP_2) | instid1(VALU_DEP_2)
	v_or_b32_e32 v7, 0x800000, v5
	v_cmp_eq_u32_e32 vcc_lo, 0, v0
	s_wait_alu 0xfffd
	v_dual_cndmask_b32 v5, v7, v5 :: v_dual_add_nc_u32 v0, 0xffffff89, v0
	v_cndmask_b32_e64 v6, v6, 0x77, vcc_lo
	s_delay_alu instid0(VALU_DEP_2) | instskip(NEXT) | instid1(VALU_DEP_2)
	v_cndmask_b32_e64 v0, v0, 0xffffff8a, vcc_lo
	v_lshrrev_b32_e32 v32, v6, v5
	v_lshl_add_u32 v7, 0x100000, v6, -1
	v_lshlrev_b32_e64 v34, v6, 0x80000
	s_delay_alu instid0(VALU_DEP_4) | instskip(NEXT) | instid1(VALU_DEP_4)
	v_add_nc_u32_e32 v6, v6, v0
	v_bfe_u32 v33, v32, 20, 1
	s_delay_alu instid0(VALU_DEP_4) | instskip(NEXT) | instid1(VALU_DEP_2)
	v_and_b32_e32 v5, v7, v5
	v_add_nc_u32_e32 v7, -1, v33
	s_delay_alu instid0(VALU_DEP_2) | instskip(SKIP_1) | instid1(VALU_DEP_1)
	v_cmp_eq_u32_e64 s0, v5, v34
	s_wait_alu 0xf1ff
	v_cndmask_b32_e64 v5, 0, v7, s0
	v_lshrrev_b32_e32 v7, 23, v32
	s_mov_b32 s0, exec_lo
	s_delay_alu instid0(VALU_DEP_2) | instskip(NEXT) | instid1(VALU_DEP_2)
	v_add_nc_u32_e32 v5, v5, v32
	v_xor_b32_e32 v7, 1, v7
	s_delay_alu instid0(VALU_DEP_2) | instskip(NEXT) | instid1(VALU_DEP_1)
	v_and_b32_e32 v0, 0xfffff, v5
	v_add_nc_u32_e32 v5, v0, v32
                                        ; implicit-def: $vgpr0
	s_delay_alu instid0(VALU_DEP_3)
	v_cmpx_ne_u32_e64 v6, v7
	s_wait_alu 0xfffe
	s_xor_b32 s0, exec_lo, s0
; %bb.843:
	s_delay_alu instid0(VALU_DEP_2) | instskip(SKIP_3) | instid1(VALU_DEP_2)
	v_cmp_lt_u32_e32 vcc_lo, 0xffffff, v5
	v_sub_nc_u32_e32 v0, v6, v7
	s_wait_alu 0xfffd
	v_cndmask_b32_e64 v6, 0, 1, vcc_lo
	v_add_co_ci_u32_e64 v0, null, 0, v0, vcc_lo
	s_delay_alu instid0(VALU_DEP_2)
	v_lshrrev_b32_e32 v5, v6, v5
; %bb.844:
	s_wait_alu 0xfffe
	s_and_not1_saveexec_b32 s0, s0
; %bb.845:
	s_delay_alu instid0(VALU_DEP_1)
	v_bfe_u32 v0, v5, 23, 1
; %bb.846:
	s_wait_alu 0xfffe
	s_or_b32 exec_lo, exec_lo, s0
	v_lshrrev_b32_e32 v5, 20, v5
	s_delay_alu instid0(VALU_DEP_2) | instskip(SKIP_3) | instid1(VALU_DEP_3)
	v_min_i32_e32 v6, 15, v0
	v_cmp_gt_i32_e32 vcc_lo, 16, v0
	v_lshrrev_b32_e32 v1, 24, v1
	s_wait_alu 0xfffd
	v_dual_cndmask_b32 v5, 7, v5 :: v_dual_lshlrev_b32 v6, 3, v6
	s_delay_alu instid0(VALU_DEP_2) | instskip(NEXT) | instid1(VALU_DEP_2)
	v_and_b32_e32 v1, 0x80, v1
	v_and_b32_e32 v6, 0xf8, v6
	s_delay_alu instid0(VALU_DEP_3) | instskip(SKIP_1) | instid1(VALU_DEP_2)
	v_and_b32_e32 v7, 7, v5
	v_or_b32_e32 v0, v0, v5
	v_or3_b32 v1, v1, v6, v7
	s_delay_alu instid0(VALU_DEP_2) | instskip(NEXT) | instid1(VALU_DEP_2)
	v_cmp_ne_u32_e32 vcc_lo, 0, v0
	v_lshlrev_b32_e32 v1, 8, v1
	s_wait_alu 0xfffd
	s_delay_alu instid0(VALU_DEP_1)
	v_cndmask_b32_e32 v0, 0, v1, vcc_lo
.LBB4_847:
	s_wait_alu 0xfffe
	s_or_b32 exec_lo, exec_lo, s6
.LBB4_848:
	s_wait_alu 0xfffe
	s_or_b32 exec_lo, exec_lo, s3
	v_and_b32_e32 v1, 0x7f800000, v2
	v_mov_b32_e32 v37, 0x800000
	s_mov_b32 s3, exec_lo
	s_delay_alu instid0(VALU_DEP_2)
	v_cmpx_ne_u32_e32 0x7f800000, v1
	s_cbranch_execz .LBB4_856
; %bb.849:
	v_mov_b32_e32 v37, 0
	s_mov_b32 s6, exec_lo
	v_cmpx_ne_u32_e32 0, v2
	s_cbranch_execz .LBB4_855
; %bb.850:
	v_bfe_u32 v1, v2, 23, 8
	v_and_b32_e32 v5, 0x7fffff, v2
	s_delay_alu instid0(VALU_DEP_2) | instskip(SKIP_1) | instid1(VALU_DEP_3)
	v_sub_nc_u32_e32 v6, 0x78, v1
	v_cmp_gt_u32_e32 vcc_lo, 0x79, v1
	v_or_b32_e32 v7, 0x800000, v5
	s_wait_alu 0xfffd
	s_delay_alu instid0(VALU_DEP_3)
	v_cndmask_b32_e32 v6, 0, v6, vcc_lo
	v_cmp_eq_u32_e32 vcc_lo, 0, v1
	v_add_nc_u32_e32 v1, 0xffffff89, v1
	s_wait_alu 0xfffd
	v_cndmask_b32_e32 v5, v7, v5, vcc_lo
	v_cndmask_b32_e64 v6, v6, 0x77, vcc_lo
	s_delay_alu instid0(VALU_DEP_3) | instskip(NEXT) | instid1(VALU_DEP_2)
	v_cndmask_b32_e64 v1, v1, 0xffffff8a, vcc_lo
	v_lshrrev_b32_e32 v32, v6, v5
	v_lshl_add_u32 v7, 0x100000, v6, -1
	v_lshlrev_b32_e64 v34, v6, 0x80000
	s_delay_alu instid0(VALU_DEP_4) | instskip(NEXT) | instid1(VALU_DEP_4)
	v_add_nc_u32_e32 v6, v6, v1
	v_bfe_u32 v33, v32, 20, 1
	s_delay_alu instid0(VALU_DEP_4) | instskip(NEXT) | instid1(VALU_DEP_2)
	v_and_b32_e32 v5, v7, v5
	v_add_nc_u32_e32 v7, -1, v33
	s_delay_alu instid0(VALU_DEP_2) | instskip(SKIP_1) | instid1(VALU_DEP_1)
	v_cmp_eq_u32_e64 s0, v5, v34
	s_wait_alu 0xf1ff
	v_cndmask_b32_e64 v5, 0, v7, s0
	v_lshrrev_b32_e32 v7, 23, v32
	s_mov_b32 s0, exec_lo
	s_delay_alu instid0(VALU_DEP_2) | instskip(NEXT) | instid1(VALU_DEP_2)
	v_add_nc_u32_e32 v5, v5, v32
	v_xor_b32_e32 v7, 1, v7
	s_delay_alu instid0(VALU_DEP_2) | instskip(NEXT) | instid1(VALU_DEP_1)
	v_and_b32_e32 v1, 0xfffff, v5
	v_add_nc_u32_e32 v5, v1, v32
                                        ; implicit-def: $vgpr1
	s_delay_alu instid0(VALU_DEP_3)
	v_cmpx_ne_u32_e64 v6, v7
	s_wait_alu 0xfffe
	s_xor_b32 s0, exec_lo, s0
; %bb.851:
	s_delay_alu instid0(VALU_DEP_2) | instskip(SKIP_3) | instid1(VALU_DEP_2)
	v_cmp_lt_u32_e32 vcc_lo, 0xffffff, v5
	v_sub_nc_u32_e32 v1, v6, v7
	s_wait_alu 0xfffd
	v_cndmask_b32_e64 v6, 0, 1, vcc_lo
	v_add_co_ci_u32_e64 v1, null, 0, v1, vcc_lo
	s_delay_alu instid0(VALU_DEP_2)
	v_lshrrev_b32_e32 v5, v6, v5
; %bb.852:
	s_wait_alu 0xfffe
	s_and_not1_saveexec_b32 s0, s0
; %bb.853:
	s_delay_alu instid0(VALU_DEP_1)
	v_bfe_u32 v1, v5, 23, 1
; %bb.854:
	s_wait_alu 0xfffe
	s_or_b32 exec_lo, exec_lo, s0
	v_lshrrev_b32_e32 v5, 20, v5
	s_delay_alu instid0(VALU_DEP_2) | instskip(SKIP_3) | instid1(VALU_DEP_3)
	v_min_i32_e32 v6, 15, v1
	v_cmp_gt_i32_e32 vcc_lo, 16, v1
	v_lshrrev_b32_e32 v2, 24, v2
	s_wait_alu 0xfffd
	v_dual_cndmask_b32 v5, 7, v5 :: v_dual_lshlrev_b32 v6, 3, v6
	s_delay_alu instid0(VALU_DEP_2) | instskip(NEXT) | instid1(VALU_DEP_2)
	v_and_b32_e32 v2, 0x80, v2
	v_and_b32_e32 v6, 0xf8, v6
	s_delay_alu instid0(VALU_DEP_3) | instskip(SKIP_1) | instid1(VALU_DEP_2)
	v_and_b32_e32 v7, 7, v5
	v_or_b32_e32 v1, v1, v5
	v_or3_b32 v2, v2, v6, v7
	s_delay_alu instid0(VALU_DEP_2) | instskip(NEXT) | instid1(VALU_DEP_2)
	v_cmp_ne_u32_e32 vcc_lo, 0, v1
	v_lshlrev_b32_e32 v2, 16, v2
	s_wait_alu 0xfffd
	s_delay_alu instid0(VALU_DEP_1)
	v_cndmask_b32_e32 v37, 0, v2, vcc_lo
.LBB4_855:
	s_wait_alu 0xfffe
	s_or_b32 exec_lo, exec_lo, s6
.LBB4_856:
	s_wait_alu 0xfffe
	s_or_b32 exec_lo, exec_lo, s3
	v_and_b32_e32 v1, 0x7f800000, v3
	v_bfrev_b32_e32 v38, 1
	s_mov_b32 s3, exec_lo
	s_delay_alu instid0(VALU_DEP_2)
	v_cmpx_ne_u32_e32 0x7f800000, v1
	s_cbranch_execz .LBB4_864
; %bb.857:
	v_mov_b32_e32 v38, 0
	s_mov_b32 s6, exec_lo
	v_cmpx_ne_u32_e32 0, v3
	s_cbranch_execz .LBB4_863
; %bb.858:
	v_bfe_u32 v1, v3, 23, 8
	s_delay_alu instid0(VALU_DEP_1) | instskip(SKIP_2) | instid1(VALU_DEP_2)
	v_sub_nc_u32_e32 v5, 0x78, v1
	v_cmp_gt_u32_e32 vcc_lo, 0x79, v1
	s_wait_alu 0xfffd
	v_dual_cndmask_b32 v5, 0, v5 :: v_dual_and_b32 v2, 0x7fffff, v3
	s_delay_alu instid0(VALU_DEP_1) | instskip(SKIP_2) | instid1(VALU_DEP_2)
	v_or_b32_e32 v6, 0x800000, v2
	v_cmp_eq_u32_e32 vcc_lo, 0, v1
	s_wait_alu 0xfffd
	v_dual_cndmask_b32 v2, v6, v2 :: v_dual_add_nc_u32 v1, 0xffffff89, v1
	v_cndmask_b32_e64 v5, v5, 0x77, vcc_lo
	s_delay_alu instid0(VALU_DEP_2) | instskip(NEXT) | instid1(VALU_DEP_2)
	v_cndmask_b32_e64 v1, v1, 0xffffff8a, vcc_lo
	v_lshrrev_b32_e32 v7, v5, v2
	v_lshl_add_u32 v6, 0x100000, v5, -1
	v_lshlrev_b32_e64 v33, v5, 0x80000
	s_delay_alu instid0(VALU_DEP_4) | instskip(NEXT) | instid1(VALU_DEP_4)
	v_add_nc_u32_e32 v5, v5, v1
	v_bfe_u32 v32, v7, 20, 1
	s_delay_alu instid0(VALU_DEP_4) | instskip(NEXT) | instid1(VALU_DEP_2)
	v_and_b32_e32 v2, v6, v2
	v_add_nc_u32_e32 v6, -1, v32
	s_delay_alu instid0(VALU_DEP_2) | instskip(SKIP_1) | instid1(VALU_DEP_1)
	v_cmp_eq_u32_e64 s0, v2, v33
	s_wait_alu 0xf1ff
	v_cndmask_b32_e64 v2, 0, v6, s0
	v_lshrrev_b32_e32 v6, 23, v7
	s_mov_b32 s0, exec_lo
	s_delay_alu instid0(VALU_DEP_2) | instskip(NEXT) | instid1(VALU_DEP_2)
	v_add_nc_u32_e32 v2, v2, v7
	v_xor_b32_e32 v6, 1, v6
	s_delay_alu instid0(VALU_DEP_2) | instskip(NEXT) | instid1(VALU_DEP_1)
	v_and_b32_e32 v1, 0xfffff, v2
	v_add_nc_u32_e32 v2, v1, v7
                                        ; implicit-def: $vgpr1
	s_delay_alu instid0(VALU_DEP_3)
	v_cmpx_ne_u32_e64 v5, v6
	s_wait_alu 0xfffe
	s_xor_b32 s0, exec_lo, s0
; %bb.859:
	s_delay_alu instid0(VALU_DEP_2) | instskip(SKIP_3) | instid1(VALU_DEP_2)
	v_cmp_lt_u32_e32 vcc_lo, 0xffffff, v2
	v_sub_nc_u32_e32 v1, v5, v6
	s_wait_alu 0xfffd
	v_cndmask_b32_e64 v5, 0, 1, vcc_lo
	v_add_co_ci_u32_e64 v1, null, 0, v1, vcc_lo
	s_delay_alu instid0(VALU_DEP_2)
	v_lshrrev_b32_e32 v2, v5, v2
; %bb.860:
	s_wait_alu 0xfffe
	s_and_not1_saveexec_b32 s0, s0
; %bb.861:
	s_delay_alu instid0(VALU_DEP_1)
	v_bfe_u32 v1, v2, 23, 1
; %bb.862:
	s_wait_alu 0xfffe
	s_or_b32 exec_lo, exec_lo, s0
	v_lshrrev_b32_e32 v2, 20, v2
	s_delay_alu instid0(VALU_DEP_2) | instskip(SKIP_3) | instid1(VALU_DEP_2)
	v_cmp_gt_i32_e32 vcc_lo, 16, v1
	v_lshrrev_b32_e32 v3, 24, v3
	v_min_i32_e32 v5, 15, v1
	s_wait_alu 0xfffd
	v_dual_cndmask_b32 v2, 7, v2 :: v_dual_and_b32 v3, 0x80, v3
	s_delay_alu instid0(VALU_DEP_1) | instskip(SKIP_1) | instid1(VALU_DEP_2)
	v_or_b32_e32 v1, v1, v2
	v_and_b32_e32 v6, 7, v2
	v_cmp_ne_u32_e32 vcc_lo, 0, v1
	v_lshlrev_b32_e32 v5, 3, v5
	s_delay_alu instid0(VALU_DEP_1) | instskip(NEXT) | instid1(VALU_DEP_1)
	v_or3_b32 v3, v3, v5, v6
	v_lshlrev_b32_e32 v2, 24, v3
	s_wait_alu 0xfffd
	s_delay_alu instid0(VALU_DEP_1)
	v_cndmask_b32_e32 v38, 0, v2, vcc_lo
.LBB4_863:
	s_wait_alu 0xfffe
	s_or_b32 exec_lo, exec_lo, s6
.LBB4_864:
	s_wait_alu 0xfffe
	s_or_b32 exec_lo, exec_lo, s3
	ds_load_b128 v[32:35], v92 offset:16
	v_or_b32_e32 v39, v0, v4
	v_wmma_f32_16x16x16_fp8_fp8 v[0:7], v[20:21], v[28:29], 0
	v_mov_b32_e32 v28, 0x80
	s_mov_b32 s6, s1
	s_delay_alu instid0(VALU_DEP_3) | instskip(SKIP_4) | instid1(VALU_DEP_1)
	v_or3_b32 v29, v37, v39, v38
	s_mov_b32 s3, exec_lo
	buffer_store_b32 v29, v36, s[4:7], null offen offset:64
	s_wait_dscnt 0x0
	v_and_b32_e32 v40, 0x7f800000, v32
	v_cmpx_ne_u32_e32 0x7f800000, v40
	s_cbranch_execz .LBB4_872
; %bb.865:
	v_mov_b32_e32 v28, 0
	s_mov_b32 s6, exec_lo
	v_cmpx_ne_u32_e32 0, v32
	s_cbranch_execz .LBB4_871
; %bb.866:
	v_bfe_u32 v28, v32, 23, 8
	v_and_b32_e32 v29, 0x7fffff, v32
	s_delay_alu instid0(VALU_DEP_2) | instskip(SKIP_1) | instid1(VALU_DEP_3)
	v_sub_nc_u32_e32 v37, 0x78, v28
	v_cmp_gt_u32_e32 vcc_lo, 0x79, v28
	v_or_b32_e32 v38, 0x800000, v29
	s_wait_alu 0xfffd
	s_delay_alu instid0(VALU_DEP_3) | instskip(SKIP_3) | instid1(VALU_DEP_3)
	v_cndmask_b32_e32 v37, 0, v37, vcc_lo
	v_cmp_eq_u32_e32 vcc_lo, 0, v28
	s_wait_alu 0xfffd
	v_dual_cndmask_b32 v29, v38, v29 :: v_dual_add_nc_u32 v28, 0xffffff89, v28
	v_cndmask_b32_e64 v37, v37, 0x77, vcc_lo
	s_delay_alu instid0(VALU_DEP_2) | instskip(NEXT) | instid1(VALU_DEP_2)
	v_cndmask_b32_e64 v28, v28, 0xffffff8a, vcc_lo
	v_lshrrev_b32_e32 v39, v37, v29
	v_lshl_add_u32 v38, 0x100000, v37, -1
	v_lshlrev_b32_e64 v41, v37, 0x80000
	s_delay_alu instid0(VALU_DEP_4) | instskip(NEXT) | instid1(VALU_DEP_4)
	v_add_nc_u32_e32 v37, v37, v28
	v_bfe_u32 v40, v39, 20, 1
	s_delay_alu instid0(VALU_DEP_4) | instskip(NEXT) | instid1(VALU_DEP_2)
	v_and_b32_e32 v29, v38, v29
	v_add_nc_u32_e32 v38, -1, v40
	s_delay_alu instid0(VALU_DEP_2) | instskip(SKIP_1) | instid1(VALU_DEP_1)
	v_cmp_eq_u32_e64 s0, v29, v41
	s_wait_alu 0xf1ff
	v_cndmask_b32_e64 v29, 0, v38, s0
	v_lshrrev_b32_e32 v38, 23, v39
	s_mov_b32 s0, exec_lo
	s_delay_alu instid0(VALU_DEP_2) | instskip(NEXT) | instid1(VALU_DEP_2)
	v_add_nc_u32_e32 v29, v29, v39
	v_xor_b32_e32 v38, 1, v38
	s_delay_alu instid0(VALU_DEP_2) | instskip(NEXT) | instid1(VALU_DEP_1)
	v_and_b32_e32 v28, 0xfffff, v29
	v_add_nc_u32_e32 v29, v28, v39
                                        ; implicit-def: $vgpr28
	s_delay_alu instid0(VALU_DEP_3)
	v_cmpx_ne_u32_e64 v37, v38
	s_wait_alu 0xfffe
	s_xor_b32 s0, exec_lo, s0
; %bb.867:
	s_delay_alu instid0(VALU_DEP_2) | instskip(SKIP_3) | instid1(VALU_DEP_2)
	v_cmp_lt_u32_e32 vcc_lo, 0xffffff, v29
	v_sub_nc_u32_e32 v28, v37, v38
	s_wait_alu 0xfffd
	v_cndmask_b32_e64 v37, 0, 1, vcc_lo
	v_add_co_ci_u32_e64 v28, null, 0, v28, vcc_lo
	s_delay_alu instid0(VALU_DEP_2)
	v_lshrrev_b32_e32 v29, v37, v29
; %bb.868:
	s_wait_alu 0xfffe
	s_and_not1_saveexec_b32 s0, s0
; %bb.869:
	s_delay_alu instid0(VALU_DEP_1)
	v_bfe_u32 v28, v29, 23, 1
; %bb.870:
	s_wait_alu 0xfffe
	s_or_b32 exec_lo, exec_lo, s0
	v_lshrrev_b32_e32 v29, 20, v29
	s_delay_alu instid0(VALU_DEP_2) | instskip(SKIP_2) | instid1(VALU_DEP_3)
	v_min_i32_e32 v37, 15, v28
	v_cmp_gt_i32_e32 vcc_lo, 16, v28
	v_lshrrev_b32_e32 v32, 24, v32
	v_lshlrev_b32_e32 v37, 3, v37
	s_wait_alu 0xfffd
	s_delay_alu instid0(VALU_DEP_2) | instskip(NEXT) | instid1(VALU_DEP_2)
	v_dual_cndmask_b32 v29, 7, v29 :: v_dual_and_b32 v32, 0x80, v32
	v_and_b32_e32 v37, 0xf8, v37
	s_delay_alu instid0(VALU_DEP_2) | instskip(SKIP_1) | instid1(VALU_DEP_2)
	v_and_b32_e32 v38, 7, v29
	v_or_b32_e32 v28, v28, v29
	v_or3_b32 v29, v37, v32, v38
	s_delay_alu instid0(VALU_DEP_2) | instskip(SKIP_1) | instid1(VALU_DEP_2)
	v_cmp_ne_u32_e32 vcc_lo, 0, v28
	s_wait_alu 0xfffd
	v_cndmask_b32_e32 v28, 0, v29, vcc_lo
.LBB4_871:
	s_wait_alu 0xfffe
	s_or_b32 exec_lo, exec_lo, s6
.LBB4_872:
	s_delay_alu instid0(SALU_CYCLE_1) | instskip(SKIP_2) | instid1(VALU_DEP_2)
	s_or_b32 exec_lo, exec_lo, s3
	v_and_b32_e32 v29, 0x7f800000, v33
	v_wmma_f32_16x16x16_fp8_fp8 v[0:7], v[22:23], v[30:31], v[0:7]
	v_cmp_ne_u32_e32 vcc_lo, 0x7f800000, v29
	v_mov_b32_e32 v29, 0x8000
	s_and_saveexec_b32 s3, vcc_lo
	s_cbranch_execz .LBB4_880
; %bb.873:
	v_mov_b32_e32 v29, 0
	s_mov_b32 s6, exec_lo
	v_cmpx_ne_u32_e32 0, v33
	s_cbranch_execz .LBB4_879
; %bb.874:
	v_bfe_u32 v29, v33, 23, 8
	s_delay_alu instid0(VALU_DEP_1) | instskip(SKIP_2) | instid1(VALU_DEP_2)
	v_sub_nc_u32_e32 v31, 0x78, v29
	v_cmp_gt_u32_e32 vcc_lo, 0x79, v29
	s_wait_alu 0xfffd
	v_dual_cndmask_b32 v31, 0, v31 :: v_dual_and_b32 v30, 0x7fffff, v33
	s_delay_alu instid0(VALU_DEP_1) | instskip(SKIP_2) | instid1(VALU_DEP_2)
	v_or_b32_e32 v32, 0x800000, v30
	v_cmp_eq_u32_e32 vcc_lo, 0, v29
	s_wait_alu 0xfffd
	v_dual_cndmask_b32 v30, v32, v30 :: v_dual_add_nc_u32 v29, 0xffffff89, v29
	v_cndmask_b32_e64 v31, v31, 0x77, vcc_lo
	s_delay_alu instid0(VALU_DEP_2) | instskip(NEXT) | instid1(VALU_DEP_2)
	v_cndmask_b32_e64 v29, v29, 0xffffff8a, vcc_lo
	v_lshrrev_b32_e32 v37, v31, v30
	v_lshl_add_u32 v32, 0x100000, v31, -1
	v_lshlrev_b32_e64 v39, v31, 0x80000
	s_delay_alu instid0(VALU_DEP_4) | instskip(NEXT) | instid1(VALU_DEP_4)
	v_add_nc_u32_e32 v31, v31, v29
	v_bfe_u32 v38, v37, 20, 1
	s_delay_alu instid0(VALU_DEP_4) | instskip(NEXT) | instid1(VALU_DEP_2)
	v_and_b32_e32 v30, v32, v30
	v_add_nc_u32_e32 v32, -1, v38
	s_delay_alu instid0(VALU_DEP_2) | instskip(SKIP_1) | instid1(VALU_DEP_1)
	v_cmp_eq_u32_e64 s0, v30, v39
	s_wait_alu 0xf1ff
	v_cndmask_b32_e64 v30, 0, v32, s0
	v_lshrrev_b32_e32 v32, 23, v37
	s_mov_b32 s0, exec_lo
	s_delay_alu instid0(VALU_DEP_2) | instskip(NEXT) | instid1(VALU_DEP_2)
	v_add_nc_u32_e32 v30, v30, v37
	v_xor_b32_e32 v32, 1, v32
	s_delay_alu instid0(VALU_DEP_2) | instskip(NEXT) | instid1(VALU_DEP_1)
	v_and_b32_e32 v29, 0xfffff, v30
	v_add_nc_u32_e32 v30, v29, v37
                                        ; implicit-def: $vgpr29
	s_delay_alu instid0(VALU_DEP_3)
	v_cmpx_ne_u32_e64 v31, v32
	s_wait_alu 0xfffe
	s_xor_b32 s0, exec_lo, s0
; %bb.875:
	s_delay_alu instid0(VALU_DEP_2) | instskip(SKIP_3) | instid1(VALU_DEP_2)
	v_cmp_lt_u32_e32 vcc_lo, 0xffffff, v30
	v_sub_nc_u32_e32 v29, v31, v32
	s_wait_alu 0xfffd
	v_cndmask_b32_e64 v31, 0, 1, vcc_lo
	v_add_co_ci_u32_e64 v29, null, 0, v29, vcc_lo
	s_delay_alu instid0(VALU_DEP_2)
	v_lshrrev_b32_e32 v30, v31, v30
; %bb.876:
	s_wait_alu 0xfffe
	s_and_not1_saveexec_b32 s0, s0
; %bb.877:
	s_delay_alu instid0(VALU_DEP_1)
	v_bfe_u32 v29, v30, 23, 1
; %bb.878:
	s_wait_alu 0xfffe
	s_or_b32 exec_lo, exec_lo, s0
	v_lshrrev_b32_e32 v30, 20, v30
	s_delay_alu instid0(VALU_DEP_2) | instskip(SKIP_3) | instid1(VALU_DEP_2)
	v_cmp_gt_i32_e32 vcc_lo, 16, v29
	v_min_i32_e32 v31, 15, v29
	v_lshrrev_b32_e32 v32, 24, v33
	s_wait_alu 0xfffd
	v_dual_cndmask_b32 v30, 7, v30 :: v_dual_lshlrev_b32 v31, 3, v31
	s_delay_alu instid0(VALU_DEP_1) | instskip(SKIP_1) | instid1(VALU_DEP_3)
	v_or_b32_e32 v29, v29, v30
	v_and_b32_e32 v33, 7, v30
	v_and_b32_e32 v31, 0xf8, v31
	s_delay_alu instid0(VALU_DEP_3) | instskip(SKIP_1) | instid1(VALU_DEP_1)
	v_cmp_ne_u32_e32 vcc_lo, 0, v29
	v_and_b32_e32 v32, 0x80, v32
	v_or3_b32 v31, v32, v31, v33
	s_delay_alu instid0(VALU_DEP_1) | instskip(SKIP_1) | instid1(VALU_DEP_1)
	v_lshlrev_b32_e32 v30, 8, v31
	s_wait_alu 0xfffd
	v_cndmask_b32_e32 v29, 0, v30, vcc_lo
.LBB4_879:
	s_wait_alu 0xfffe
	s_or_b32 exec_lo, exec_lo, s6
.LBB4_880:
	s_wait_alu 0xfffe
	s_or_b32 exec_lo, exec_lo, s3
	v_and_b32_e32 v30, 0x7f800000, v34
	v_wmma_f32_16x16x16_fp8_fp8 v[0:7], v[12:13], v[24:25], v[0:7]
	v_mov_b32_e32 v24, 0x800000
	s_mov_b32 s3, exec_lo
	s_delay_alu instid0(VALU_DEP_3)
	v_cmpx_ne_u32_e32 0x7f800000, v30
	s_cbranch_execz .LBB4_888
; %bb.881:
	v_mov_b32_e32 v24, 0
	s_mov_b32 s6, exec_lo
	v_cmpx_ne_u32_e32 0, v34
	s_cbranch_execz .LBB4_887
; %bb.882:
	v_bfe_u32 v24, v34, 23, 8
	v_and_b32_e32 v25, 0x7fffff, v34
	s_delay_alu instid0(VALU_DEP_2) | instskip(SKIP_1) | instid1(VALU_DEP_3)
	v_sub_nc_u32_e32 v30, 0x78, v24
	v_cmp_gt_u32_e32 vcc_lo, 0x79, v24
	v_or_b32_e32 v31, 0x800000, v25
	s_wait_alu 0xfffd
	s_delay_alu instid0(VALU_DEP_3) | instskip(SKIP_3) | instid1(VALU_DEP_3)
	v_cndmask_b32_e32 v30, 0, v30, vcc_lo
	v_cmp_eq_u32_e32 vcc_lo, 0, v24
	s_wait_alu 0xfffd
	v_dual_cndmask_b32 v25, v31, v25 :: v_dual_add_nc_u32 v24, 0xffffff89, v24
	v_cndmask_b32_e64 v30, v30, 0x77, vcc_lo
	s_delay_alu instid0(VALU_DEP_2) | instskip(NEXT) | instid1(VALU_DEP_2)
	v_cndmask_b32_e64 v24, v24, 0xffffff8a, vcc_lo
	v_lshrrev_b32_e32 v32, v30, v25
	v_lshl_add_u32 v31, 0x100000, v30, -1
	v_lshlrev_b32_e64 v37, v30, 0x80000
	s_delay_alu instid0(VALU_DEP_4) | instskip(NEXT) | instid1(VALU_DEP_4)
	v_add_nc_u32_e32 v30, v30, v24
	v_bfe_u32 v33, v32, 20, 1
	s_delay_alu instid0(VALU_DEP_4) | instskip(NEXT) | instid1(VALU_DEP_2)
	v_and_b32_e32 v25, v31, v25
	v_add_nc_u32_e32 v31, -1, v33
	s_delay_alu instid0(VALU_DEP_2) | instskip(SKIP_1) | instid1(VALU_DEP_1)
	v_cmp_eq_u32_e64 s0, v25, v37
	s_wait_alu 0xf1ff
	v_cndmask_b32_e64 v25, 0, v31, s0
	v_lshrrev_b32_e32 v31, 23, v32
	s_mov_b32 s0, exec_lo
	s_delay_alu instid0(VALU_DEP_2) | instskip(NEXT) | instid1(VALU_DEP_2)
	v_add_nc_u32_e32 v25, v25, v32
	v_xor_b32_e32 v31, 1, v31
	s_delay_alu instid0(VALU_DEP_2) | instskip(NEXT) | instid1(VALU_DEP_1)
	v_and_b32_e32 v24, 0xfffff, v25
	v_add_nc_u32_e32 v25, v24, v32
                                        ; implicit-def: $vgpr24
	s_delay_alu instid0(VALU_DEP_3)
	v_cmpx_ne_u32_e64 v30, v31
	s_wait_alu 0xfffe
	s_xor_b32 s0, exec_lo, s0
; %bb.883:
	s_delay_alu instid0(VALU_DEP_2) | instskip(SKIP_3) | instid1(VALU_DEP_2)
	v_cmp_lt_u32_e32 vcc_lo, 0xffffff, v25
	v_sub_nc_u32_e32 v24, v30, v31
	s_wait_alu 0xfffd
	v_cndmask_b32_e64 v30, 0, 1, vcc_lo
	v_add_co_ci_u32_e64 v24, null, 0, v24, vcc_lo
	s_delay_alu instid0(VALU_DEP_2)
	v_lshrrev_b32_e32 v25, v30, v25
; %bb.884:
	s_wait_alu 0xfffe
	s_and_not1_saveexec_b32 s0, s0
; %bb.885:
	s_delay_alu instid0(VALU_DEP_1)
	v_bfe_u32 v24, v25, 23, 1
; %bb.886:
	s_wait_alu 0xfffe
	s_or_b32 exec_lo, exec_lo, s0
	v_lshrrev_b32_e32 v25, 20, v25
	s_delay_alu instid0(VALU_DEP_2) | instskip(SKIP_3) | instid1(VALU_DEP_2)
	v_cmp_gt_i32_e32 vcc_lo, 16, v24
	v_min_i32_e32 v30, 15, v24
	v_lshrrev_b32_e32 v31, 24, v34
	s_wait_alu 0xfffd
	v_dual_cndmask_b32 v25, 7, v25 :: v_dual_lshlrev_b32 v30, 3, v30
	s_delay_alu instid0(VALU_DEP_1) | instskip(SKIP_1) | instid1(VALU_DEP_3)
	v_or_b32_e32 v24, v24, v25
	v_and_b32_e32 v32, 7, v25
	v_and_b32_e32 v30, 0xf8, v30
	s_delay_alu instid0(VALU_DEP_3) | instskip(SKIP_1) | instid1(VALU_DEP_1)
	v_cmp_ne_u32_e32 vcc_lo, 0, v24
	v_and_b32_e32 v31, 0x80, v31
	v_or3_b32 v30, v31, v30, v32
	s_delay_alu instid0(VALU_DEP_1) | instskip(SKIP_1) | instid1(VALU_DEP_1)
	v_lshlrev_b32_e32 v25, 16, v30
	s_wait_alu 0xfffd
	v_cndmask_b32_e32 v24, 0, v25, vcc_lo
.LBB4_887:
	s_wait_alu 0xfffe
	s_or_b32 exec_lo, exec_lo, s6
.LBB4_888:
	s_wait_alu 0xfffe
	s_or_b32 exec_lo, exec_lo, s3
	v_and_b32_e32 v25, 0x7f800000, v35
	v_wmma_f32_16x16x16_fp8_fp8 v[0:7], v[14:15], v[26:27], v[0:7]
	s_delay_alu instid0(VALU_DEP_2)
	v_cmp_ne_u32_e32 vcc_lo, 0x7f800000, v25
	v_bfrev_b32_e32 v25, 1
	s_and_saveexec_b32 s3, vcc_lo
	s_cbranch_execz .LBB4_896
; %bb.889:
	v_mov_b32_e32 v25, 0
	s_mov_b32 s6, exec_lo
	v_cmpx_ne_u32_e32 0, v35
	s_cbranch_execz .LBB4_895
; %bb.890:
	v_bfe_u32 v25, v35, 23, 8
	v_and_b32_e32 v26, 0x7fffff, v35
	s_delay_alu instid0(VALU_DEP_2) | instskip(SKIP_1) | instid1(VALU_DEP_3)
	v_sub_nc_u32_e32 v27, 0x78, v25
	v_cmp_gt_u32_e32 vcc_lo, 0x79, v25
	v_or_b32_e32 v30, 0x800000, v26
	s_wait_alu 0xfffd
	s_delay_alu instid0(VALU_DEP_3) | instskip(SKIP_3) | instid1(VALU_DEP_3)
	v_cndmask_b32_e32 v27, 0, v27, vcc_lo
	v_cmp_eq_u32_e32 vcc_lo, 0, v25
	s_wait_alu 0xfffd
	v_dual_cndmask_b32 v26, v30, v26 :: v_dual_add_nc_u32 v25, 0xffffff89, v25
	v_cndmask_b32_e64 v27, v27, 0x77, vcc_lo
	s_delay_alu instid0(VALU_DEP_2) | instskip(NEXT) | instid1(VALU_DEP_2)
	v_cndmask_b32_e64 v25, v25, 0xffffff8a, vcc_lo
	v_lshrrev_b32_e32 v31, v27, v26
	v_lshl_add_u32 v30, 0x100000, v27, -1
	v_lshlrev_b32_e64 v33, v27, 0x80000
	s_delay_alu instid0(VALU_DEP_4) | instskip(NEXT) | instid1(VALU_DEP_4)
	v_add_nc_u32_e32 v27, v27, v25
	v_bfe_u32 v32, v31, 20, 1
	s_delay_alu instid0(VALU_DEP_4) | instskip(NEXT) | instid1(VALU_DEP_2)
	v_and_b32_e32 v26, v30, v26
	v_add_nc_u32_e32 v30, -1, v32
	s_delay_alu instid0(VALU_DEP_2) | instskip(SKIP_1) | instid1(VALU_DEP_1)
	v_cmp_eq_u32_e64 s0, v26, v33
	s_wait_alu 0xf1ff
	v_cndmask_b32_e64 v26, 0, v30, s0
	v_lshrrev_b32_e32 v30, 23, v31
	s_mov_b32 s0, exec_lo
	s_delay_alu instid0(VALU_DEP_2) | instskip(NEXT) | instid1(VALU_DEP_2)
	v_add_nc_u32_e32 v26, v26, v31
	v_xor_b32_e32 v30, 1, v30
	s_delay_alu instid0(VALU_DEP_2) | instskip(NEXT) | instid1(VALU_DEP_1)
	v_and_b32_e32 v25, 0xfffff, v26
	v_add_nc_u32_e32 v26, v25, v31
                                        ; implicit-def: $vgpr25
	s_delay_alu instid0(VALU_DEP_3)
	v_cmpx_ne_u32_e64 v27, v30
	s_wait_alu 0xfffe
	s_xor_b32 s0, exec_lo, s0
; %bb.891:
	s_delay_alu instid0(VALU_DEP_2) | instskip(SKIP_3) | instid1(VALU_DEP_2)
	v_cmp_lt_u32_e32 vcc_lo, 0xffffff, v26
	v_sub_nc_u32_e32 v25, v27, v30
	s_wait_alu 0xfffd
	v_cndmask_b32_e64 v27, 0, 1, vcc_lo
	v_add_co_ci_u32_e64 v25, null, 0, v25, vcc_lo
	s_delay_alu instid0(VALU_DEP_2)
	v_lshrrev_b32_e32 v26, v27, v26
; %bb.892:
	s_wait_alu 0xfffe
	s_and_not1_saveexec_b32 s0, s0
; %bb.893:
	s_delay_alu instid0(VALU_DEP_1)
	v_bfe_u32 v25, v26, 23, 1
; %bb.894:
	s_wait_alu 0xfffe
	s_or_b32 exec_lo, exec_lo, s0
	v_lshrrev_b32_e32 v26, 20, v26
	s_delay_alu instid0(VALU_DEP_2) | instskip(SKIP_3) | instid1(VALU_DEP_2)
	v_cmp_gt_i32_e32 vcc_lo, 16, v25
	v_lshrrev_b32_e32 v27, 24, v35
	v_min_i32_e32 v30, 15, v25
	s_wait_alu 0xfffd
	v_dual_cndmask_b32 v26, 7, v26 :: v_dual_and_b32 v27, 0x80, v27
	s_delay_alu instid0(VALU_DEP_2) | instskip(NEXT) | instid1(VALU_DEP_2)
	v_lshlrev_b32_e32 v30, 3, v30
	v_and_b32_e32 v31, 7, v26
	v_or_b32_e32 v25, v25, v26
	s_delay_alu instid0(VALU_DEP_2) | instskip(NEXT) | instid1(VALU_DEP_2)
	v_or3_b32 v27, v27, v30, v31
	v_cmp_ne_u32_e32 vcc_lo, 0, v25
	s_delay_alu instid0(VALU_DEP_2) | instskip(SKIP_1) | instid1(VALU_DEP_1)
	v_lshlrev_b32_e32 v26, 24, v27
	s_wait_alu 0xfffd
	v_cndmask_b32_e32 v25, 0, v26, vcc_lo
.LBB4_895:
	s_wait_alu 0xfffe
	s_or_b32 exec_lo, exec_lo, s6
.LBB4_896:
	s_wait_alu 0xfffe
	s_or_b32 exec_lo, exec_lo, s3
	v_or_b32_e32 v26, v29, v28
	s_mov_b32 s6, s1
	s_delay_alu instid0(VALU_DEP_1)
	v_or3_b32 v24, v24, v26, v25
	buffer_store_b32 v24, v36, s[4:7], null offen offset:68
	s_wait_dscnt 0x0
	s_barrier_signal -1
	s_barrier_wait -1
	ds_store_2addr_stride64_b32 v93, v0, v1 offset1:1
	ds_store_2addr_stride64_b32 v93, v2, v3 offset0:2 offset1:3
	ds_store_2addr_stride64_b32 v93, v4, v5 offset0:4 offset1:5
	;; [unrolled: 1-line block ×3, first 2 shown]
	s_wait_dscnt 0x0
	s_barrier_signal -1
	s_barrier_wait -1
	ds_load_b128 v[0:3], v92
	s_wait_dscnt 0x0
	v_and_b32_e32 v4, 0x7f800000, v0
	s_delay_alu instid0(VALU_DEP_1)
	v_cmp_ne_u32_e32 vcc_lo, 0x7f800000, v4
	v_mov_b32_e32 v4, 0x80
	s_and_saveexec_b32 s3, vcc_lo
	s_cbranch_execz .LBB4_904
; %bb.897:
	v_mov_b32_e32 v4, 0
	s_mov_b32 s6, exec_lo
	v_cmpx_ne_u32_e32 0, v0
	s_cbranch_execz .LBB4_903
; %bb.898:
	v_bfe_u32 v4, v0, 23, 8
	s_delay_alu instid0(VALU_DEP_1) | instskip(SKIP_2) | instid1(VALU_DEP_2)
	v_sub_nc_u32_e32 v6, 0x78, v4
	v_cmp_gt_u32_e32 vcc_lo, 0x79, v4
	s_wait_alu 0xfffd
	v_dual_cndmask_b32 v6, 0, v6 :: v_dual_and_b32 v5, 0x7fffff, v0
	s_delay_alu instid0(VALU_DEP_1) | instskip(SKIP_2) | instid1(VALU_DEP_2)
	v_or_b32_e32 v7, 0x800000, v5
	v_cmp_eq_u32_e32 vcc_lo, 0, v4
	s_wait_alu 0xfffd
	v_dual_cndmask_b32 v5, v7, v5 :: v_dual_add_nc_u32 v4, 0xffffff89, v4
	v_cndmask_b32_e64 v6, v6, 0x77, vcc_lo
	s_delay_alu instid0(VALU_DEP_2) | instskip(NEXT) | instid1(VALU_DEP_2)
	v_cndmask_b32_e64 v4, v4, 0xffffff8a, vcc_lo
	v_lshrrev_b32_e32 v24, v6, v5
	v_lshl_add_u32 v7, 0x100000, v6, -1
	v_lshlrev_b32_e64 v26, v6, 0x80000
	s_delay_alu instid0(VALU_DEP_4) | instskip(NEXT) | instid1(VALU_DEP_4)
	v_add_nc_u32_e32 v6, v6, v4
	v_bfe_u32 v25, v24, 20, 1
	s_delay_alu instid0(VALU_DEP_4) | instskip(NEXT) | instid1(VALU_DEP_2)
	v_and_b32_e32 v5, v7, v5
	v_add_nc_u32_e32 v7, -1, v25
	s_delay_alu instid0(VALU_DEP_2) | instskip(SKIP_1) | instid1(VALU_DEP_1)
	v_cmp_eq_u32_e64 s0, v5, v26
	s_wait_alu 0xf1ff
	v_cndmask_b32_e64 v5, 0, v7, s0
	v_lshrrev_b32_e32 v7, 23, v24
	s_mov_b32 s0, exec_lo
	s_delay_alu instid0(VALU_DEP_2) | instskip(NEXT) | instid1(VALU_DEP_2)
	v_add_nc_u32_e32 v5, v5, v24
	v_xor_b32_e32 v7, 1, v7
	s_delay_alu instid0(VALU_DEP_2) | instskip(NEXT) | instid1(VALU_DEP_1)
	v_and_b32_e32 v4, 0xfffff, v5
	v_add_nc_u32_e32 v5, v4, v24
                                        ; implicit-def: $vgpr4
	s_delay_alu instid0(VALU_DEP_3)
	v_cmpx_ne_u32_e64 v6, v7
	s_wait_alu 0xfffe
	s_xor_b32 s0, exec_lo, s0
; %bb.899:
	s_delay_alu instid0(VALU_DEP_2) | instskip(SKIP_3) | instid1(VALU_DEP_2)
	v_cmp_lt_u32_e32 vcc_lo, 0xffffff, v5
	v_sub_nc_u32_e32 v4, v6, v7
	s_wait_alu 0xfffd
	v_cndmask_b32_e64 v6, 0, 1, vcc_lo
	v_add_co_ci_u32_e64 v4, null, 0, v4, vcc_lo
	s_delay_alu instid0(VALU_DEP_2)
	v_lshrrev_b32_e32 v5, v6, v5
; %bb.900:
	s_wait_alu 0xfffe
	s_and_not1_saveexec_b32 s0, s0
; %bb.901:
	s_delay_alu instid0(VALU_DEP_1)
	v_bfe_u32 v4, v5, 23, 1
; %bb.902:
	s_wait_alu 0xfffe
	s_or_b32 exec_lo, exec_lo, s0
	v_lshrrev_b32_e32 v5, 20, v5
	s_delay_alu instid0(VALU_DEP_2) | instskip(SKIP_3) | instid1(VALU_DEP_2)
	v_cmp_gt_i32_e32 vcc_lo, 16, v4
	v_min_i32_e32 v6, 15, v4
	v_lshrrev_b32_e32 v0, 24, v0
	s_wait_alu 0xfffd
	v_dual_cndmask_b32 v5, 7, v5 :: v_dual_lshlrev_b32 v6, 3, v6
	s_delay_alu instid0(VALU_DEP_2) | instskip(NEXT) | instid1(VALU_DEP_2)
	v_and_b32_e32 v0, 0x80, v0
	v_or_b32_e32 v4, v4, v5
	s_delay_alu instid0(VALU_DEP_3) | instskip(NEXT) | instid1(VALU_DEP_2)
	v_and_b32_e32 v6, 0xf8, v6
	v_cmp_ne_u32_e32 vcc_lo, 0, v4
	v_and_b32_e32 v7, 7, v5
	s_delay_alu instid0(VALU_DEP_1) | instskip(SKIP_1) | instid1(VALU_DEP_1)
	v_or3_b32 v0, v6, v0, v7
	s_wait_alu 0xfffd
	v_cndmask_b32_e32 v4, 0, v0, vcc_lo
.LBB4_903:
	s_wait_alu 0xfffe
	s_or_b32 exec_lo, exec_lo, s6
.LBB4_904:
	s_wait_alu 0xfffe
	s_or_b32 exec_lo, exec_lo, s3
	v_and_b32_e32 v0, 0x7f800000, v1
	s_delay_alu instid0(VALU_DEP_1)
	v_cmp_ne_u32_e32 vcc_lo, 0x7f800000, v0
	v_mov_b32_e32 v0, 0x8000
	s_and_saveexec_b32 s3, vcc_lo
	s_cbranch_execz .LBB4_912
; %bb.905:
	v_mov_b32_e32 v0, 0
	s_mov_b32 s6, exec_lo
	v_cmpx_ne_u32_e32 0, v1
	s_cbranch_execz .LBB4_911
; %bb.906:
	v_bfe_u32 v0, v1, 23, 8
	s_delay_alu instid0(VALU_DEP_1) | instskip(SKIP_2) | instid1(VALU_DEP_2)
	v_sub_nc_u32_e32 v6, 0x78, v0
	v_cmp_gt_u32_e32 vcc_lo, 0x79, v0
	s_wait_alu 0xfffd
	v_dual_cndmask_b32 v6, 0, v6 :: v_dual_and_b32 v5, 0x7fffff, v1
	s_delay_alu instid0(VALU_DEP_1) | instskip(SKIP_2) | instid1(VALU_DEP_2)
	v_or_b32_e32 v7, 0x800000, v5
	v_cmp_eq_u32_e32 vcc_lo, 0, v0
	s_wait_alu 0xfffd
	v_dual_cndmask_b32 v5, v7, v5 :: v_dual_add_nc_u32 v0, 0xffffff89, v0
	v_cndmask_b32_e64 v6, v6, 0x77, vcc_lo
	s_delay_alu instid0(VALU_DEP_2) | instskip(NEXT) | instid1(VALU_DEP_2)
	v_cndmask_b32_e64 v0, v0, 0xffffff8a, vcc_lo
	v_lshrrev_b32_e32 v24, v6, v5
	v_lshl_add_u32 v7, 0x100000, v6, -1
	v_lshlrev_b32_e64 v26, v6, 0x80000
	s_delay_alu instid0(VALU_DEP_4) | instskip(NEXT) | instid1(VALU_DEP_4)
	v_add_nc_u32_e32 v6, v6, v0
	v_bfe_u32 v25, v24, 20, 1
	s_delay_alu instid0(VALU_DEP_4) | instskip(NEXT) | instid1(VALU_DEP_2)
	v_and_b32_e32 v5, v7, v5
	v_add_nc_u32_e32 v7, -1, v25
	s_delay_alu instid0(VALU_DEP_2) | instskip(SKIP_1) | instid1(VALU_DEP_1)
	v_cmp_eq_u32_e64 s0, v5, v26
	s_wait_alu 0xf1ff
	v_cndmask_b32_e64 v5, 0, v7, s0
	v_lshrrev_b32_e32 v7, 23, v24
	s_mov_b32 s0, exec_lo
	s_delay_alu instid0(VALU_DEP_2) | instskip(NEXT) | instid1(VALU_DEP_2)
	v_add_nc_u32_e32 v5, v5, v24
	v_xor_b32_e32 v7, 1, v7
	s_delay_alu instid0(VALU_DEP_2) | instskip(NEXT) | instid1(VALU_DEP_1)
	v_and_b32_e32 v0, 0xfffff, v5
	v_add_nc_u32_e32 v5, v0, v24
                                        ; implicit-def: $vgpr0
	s_delay_alu instid0(VALU_DEP_3)
	v_cmpx_ne_u32_e64 v6, v7
	s_wait_alu 0xfffe
	s_xor_b32 s0, exec_lo, s0
; %bb.907:
	s_delay_alu instid0(VALU_DEP_2) | instskip(SKIP_3) | instid1(VALU_DEP_2)
	v_cmp_lt_u32_e32 vcc_lo, 0xffffff, v5
	v_sub_nc_u32_e32 v0, v6, v7
	s_wait_alu 0xfffd
	v_cndmask_b32_e64 v6, 0, 1, vcc_lo
	v_add_co_ci_u32_e64 v0, null, 0, v0, vcc_lo
	s_delay_alu instid0(VALU_DEP_2)
	v_lshrrev_b32_e32 v5, v6, v5
; %bb.908:
	s_wait_alu 0xfffe
	s_and_not1_saveexec_b32 s0, s0
; %bb.909:
	s_delay_alu instid0(VALU_DEP_1)
	v_bfe_u32 v0, v5, 23, 1
; %bb.910:
	s_wait_alu 0xfffe
	s_or_b32 exec_lo, exec_lo, s0
	v_lshrrev_b32_e32 v5, 20, v5
	s_delay_alu instid0(VALU_DEP_2) | instskip(SKIP_3) | instid1(VALU_DEP_3)
	v_min_i32_e32 v6, 15, v0
	v_cmp_gt_i32_e32 vcc_lo, 16, v0
	v_lshrrev_b32_e32 v1, 24, v1
	s_wait_alu 0xfffd
	v_dual_cndmask_b32 v5, 7, v5 :: v_dual_lshlrev_b32 v6, 3, v6
	s_delay_alu instid0(VALU_DEP_2) | instskip(NEXT) | instid1(VALU_DEP_2)
	v_and_b32_e32 v1, 0x80, v1
	v_and_b32_e32 v6, 0xf8, v6
	s_delay_alu instid0(VALU_DEP_3) | instskip(SKIP_1) | instid1(VALU_DEP_2)
	v_and_b32_e32 v7, 7, v5
	v_or_b32_e32 v0, v0, v5
	v_or3_b32 v1, v1, v6, v7
	s_delay_alu instid0(VALU_DEP_2) | instskip(NEXT) | instid1(VALU_DEP_2)
	v_cmp_ne_u32_e32 vcc_lo, 0, v0
	v_lshlrev_b32_e32 v1, 8, v1
	s_wait_alu 0xfffd
	s_delay_alu instid0(VALU_DEP_1)
	v_cndmask_b32_e32 v0, 0, v1, vcc_lo
.LBB4_911:
	s_wait_alu 0xfffe
	s_or_b32 exec_lo, exec_lo, s6
.LBB4_912:
	s_wait_alu 0xfffe
	s_or_b32 exec_lo, exec_lo, s3
	v_and_b32_e32 v1, 0x7f800000, v2
	v_mov_b32_e32 v28, 0x800000
	s_mov_b32 s3, exec_lo
	s_delay_alu instid0(VALU_DEP_2)
	v_cmpx_ne_u32_e32 0x7f800000, v1
	s_cbranch_execz .LBB4_920
; %bb.913:
	v_mov_b32_e32 v28, 0
	s_mov_b32 s6, exec_lo
	v_cmpx_ne_u32_e32 0, v2
	s_cbranch_execz .LBB4_919
; %bb.914:
	v_bfe_u32 v1, v2, 23, 8
	v_and_b32_e32 v5, 0x7fffff, v2
	s_delay_alu instid0(VALU_DEP_2) | instskip(SKIP_1) | instid1(VALU_DEP_3)
	v_sub_nc_u32_e32 v6, 0x78, v1
	v_cmp_gt_u32_e32 vcc_lo, 0x79, v1
	v_or_b32_e32 v7, 0x800000, v5
	s_wait_alu 0xfffd
	s_delay_alu instid0(VALU_DEP_3)
	v_cndmask_b32_e32 v6, 0, v6, vcc_lo
	v_cmp_eq_u32_e32 vcc_lo, 0, v1
	v_add_nc_u32_e32 v1, 0xffffff89, v1
	s_wait_alu 0xfffd
	v_cndmask_b32_e32 v5, v7, v5, vcc_lo
	v_cndmask_b32_e64 v6, v6, 0x77, vcc_lo
	s_delay_alu instid0(VALU_DEP_3) | instskip(NEXT) | instid1(VALU_DEP_2)
	v_cndmask_b32_e64 v1, v1, 0xffffff8a, vcc_lo
	v_lshrrev_b32_e32 v24, v6, v5
	v_lshl_add_u32 v7, 0x100000, v6, -1
	v_lshlrev_b32_e64 v26, v6, 0x80000
	s_delay_alu instid0(VALU_DEP_4) | instskip(NEXT) | instid1(VALU_DEP_4)
	v_add_nc_u32_e32 v6, v6, v1
	v_bfe_u32 v25, v24, 20, 1
	s_delay_alu instid0(VALU_DEP_4) | instskip(NEXT) | instid1(VALU_DEP_2)
	v_and_b32_e32 v5, v7, v5
	v_add_nc_u32_e32 v7, -1, v25
	s_delay_alu instid0(VALU_DEP_2) | instskip(SKIP_1) | instid1(VALU_DEP_1)
	v_cmp_eq_u32_e64 s0, v5, v26
	s_wait_alu 0xf1ff
	v_cndmask_b32_e64 v5, 0, v7, s0
	v_lshrrev_b32_e32 v7, 23, v24
	s_mov_b32 s0, exec_lo
	s_delay_alu instid0(VALU_DEP_2) | instskip(NEXT) | instid1(VALU_DEP_2)
	v_add_nc_u32_e32 v5, v5, v24
	v_xor_b32_e32 v7, 1, v7
	s_delay_alu instid0(VALU_DEP_2) | instskip(NEXT) | instid1(VALU_DEP_1)
	v_and_b32_e32 v1, 0xfffff, v5
	v_add_nc_u32_e32 v5, v1, v24
                                        ; implicit-def: $vgpr1
	s_delay_alu instid0(VALU_DEP_3)
	v_cmpx_ne_u32_e64 v6, v7
	s_wait_alu 0xfffe
	s_xor_b32 s0, exec_lo, s0
; %bb.915:
	s_delay_alu instid0(VALU_DEP_2) | instskip(SKIP_3) | instid1(VALU_DEP_2)
	v_cmp_lt_u32_e32 vcc_lo, 0xffffff, v5
	v_sub_nc_u32_e32 v1, v6, v7
	s_wait_alu 0xfffd
	v_cndmask_b32_e64 v6, 0, 1, vcc_lo
	v_add_co_ci_u32_e64 v1, null, 0, v1, vcc_lo
	s_delay_alu instid0(VALU_DEP_2)
	v_lshrrev_b32_e32 v5, v6, v5
; %bb.916:
	s_wait_alu 0xfffe
	s_and_not1_saveexec_b32 s0, s0
; %bb.917:
	s_delay_alu instid0(VALU_DEP_1)
	v_bfe_u32 v1, v5, 23, 1
; %bb.918:
	s_wait_alu 0xfffe
	s_or_b32 exec_lo, exec_lo, s0
	v_lshrrev_b32_e32 v5, 20, v5
	s_delay_alu instid0(VALU_DEP_2) | instskip(SKIP_3) | instid1(VALU_DEP_2)
	v_cmp_gt_i32_e32 vcc_lo, 16, v1
	v_min_i32_e32 v6, 15, v1
	v_lshrrev_b32_e32 v2, 24, v2
	s_wait_alu 0xfffd
	v_dual_cndmask_b32 v5, 7, v5 :: v_dual_lshlrev_b32 v6, 3, v6
	s_delay_alu instid0(VALU_DEP_2) | instskip(NEXT) | instid1(VALU_DEP_2)
	v_and_b32_e32 v2, 0x80, v2
	v_or_b32_e32 v1, v1, v5
	s_delay_alu instid0(VALU_DEP_3) | instskip(NEXT) | instid1(VALU_DEP_2)
	v_and_b32_e32 v6, 0xf8, v6
	v_cmp_ne_u32_e32 vcc_lo, 0, v1
	v_and_b32_e32 v7, 7, v5
	s_delay_alu instid0(VALU_DEP_1) | instskip(NEXT) | instid1(VALU_DEP_1)
	v_or3_b32 v2, v2, v6, v7
	v_lshlrev_b32_e32 v2, 16, v2
	s_wait_alu 0xfffd
	s_delay_alu instid0(VALU_DEP_1)
	v_cndmask_b32_e32 v28, 0, v2, vcc_lo
.LBB4_919:
	s_wait_alu 0xfffe
	s_or_b32 exec_lo, exec_lo, s6
.LBB4_920:
	s_wait_alu 0xfffe
	s_or_b32 exec_lo, exec_lo, s3
	v_and_b32_e32 v1, 0x7f800000, v3
	v_add_nc_u32_e32 v29, 64, v36
	v_bfrev_b32_e32 v30, 1
	s_mov_b32 s3, exec_lo
	s_delay_alu instid0(VALU_DEP_3)
	v_cmpx_ne_u32_e32 0x7f800000, v1
	s_cbranch_execz .LBB4_928
; %bb.921:
	v_mov_b32_e32 v30, 0
	s_mov_b32 s6, exec_lo
	v_cmpx_ne_u32_e32 0, v3
	s_cbranch_execz .LBB4_927
; %bb.922:
	v_bfe_u32 v1, v3, 23, 8
	s_delay_alu instid0(VALU_DEP_1) | instskip(SKIP_2) | instid1(VALU_DEP_2)
	v_sub_nc_u32_e32 v5, 0x78, v1
	v_cmp_gt_u32_e32 vcc_lo, 0x79, v1
	s_wait_alu 0xfffd
	v_dual_cndmask_b32 v5, 0, v5 :: v_dual_and_b32 v2, 0x7fffff, v3
	s_delay_alu instid0(VALU_DEP_1) | instskip(SKIP_2) | instid1(VALU_DEP_2)
	v_or_b32_e32 v6, 0x800000, v2
	v_cmp_eq_u32_e32 vcc_lo, 0, v1
	s_wait_alu 0xfffd
	v_dual_cndmask_b32 v2, v6, v2 :: v_dual_add_nc_u32 v1, 0xffffff89, v1
	v_cndmask_b32_e64 v5, v5, 0x77, vcc_lo
	s_delay_alu instid0(VALU_DEP_2) | instskip(NEXT) | instid1(VALU_DEP_2)
	v_cndmask_b32_e64 v1, v1, 0xffffff8a, vcc_lo
	v_lshrrev_b32_e32 v7, v5, v2
	v_lshl_add_u32 v6, 0x100000, v5, -1
	v_lshlrev_b32_e64 v25, v5, 0x80000
	s_delay_alu instid0(VALU_DEP_4) | instskip(NEXT) | instid1(VALU_DEP_4)
	v_add_nc_u32_e32 v5, v5, v1
	v_bfe_u32 v24, v7, 20, 1
	s_delay_alu instid0(VALU_DEP_4) | instskip(NEXT) | instid1(VALU_DEP_2)
	v_and_b32_e32 v2, v6, v2
	v_add_nc_u32_e32 v6, -1, v24
	s_delay_alu instid0(VALU_DEP_2) | instskip(SKIP_1) | instid1(VALU_DEP_1)
	v_cmp_eq_u32_e64 s0, v2, v25
	s_wait_alu 0xf1ff
	v_cndmask_b32_e64 v2, 0, v6, s0
	v_lshrrev_b32_e32 v6, 23, v7
	s_mov_b32 s0, exec_lo
	s_delay_alu instid0(VALU_DEP_2) | instskip(NEXT) | instid1(VALU_DEP_2)
	v_add_nc_u32_e32 v2, v2, v7
	v_xor_b32_e32 v6, 1, v6
	s_delay_alu instid0(VALU_DEP_2) | instskip(NEXT) | instid1(VALU_DEP_1)
	v_and_b32_e32 v1, 0xfffff, v2
	v_add_nc_u32_e32 v2, v1, v7
                                        ; implicit-def: $vgpr1
	s_delay_alu instid0(VALU_DEP_3)
	v_cmpx_ne_u32_e64 v5, v6
	s_wait_alu 0xfffe
	s_xor_b32 s0, exec_lo, s0
; %bb.923:
	s_delay_alu instid0(VALU_DEP_2) | instskip(SKIP_3) | instid1(VALU_DEP_2)
	v_cmp_lt_u32_e32 vcc_lo, 0xffffff, v2
	v_sub_nc_u32_e32 v1, v5, v6
	s_wait_alu 0xfffd
	v_cndmask_b32_e64 v5, 0, 1, vcc_lo
	v_add_co_ci_u32_e64 v1, null, 0, v1, vcc_lo
	s_delay_alu instid0(VALU_DEP_2)
	v_lshrrev_b32_e32 v2, v5, v2
; %bb.924:
	s_wait_alu 0xfffe
	s_and_not1_saveexec_b32 s0, s0
; %bb.925:
	s_delay_alu instid0(VALU_DEP_1)
	v_bfe_u32 v1, v2, 23, 1
; %bb.926:
	s_wait_alu 0xfffe
	s_or_b32 exec_lo, exec_lo, s0
	v_lshrrev_b32_e32 v2, 20, v2
	s_delay_alu instid0(VALU_DEP_2) | instskip(SKIP_3) | instid1(VALU_DEP_2)
	v_cmp_gt_i32_e32 vcc_lo, 16, v1
	v_lshrrev_b32_e32 v3, 24, v3
	v_min_i32_e32 v5, 15, v1
	s_wait_alu 0xfffd
	v_dual_cndmask_b32 v2, 7, v2 :: v_dual_and_b32 v3, 0x80, v3
	s_delay_alu instid0(VALU_DEP_1) | instskip(SKIP_1) | instid1(VALU_DEP_2)
	v_or_b32_e32 v1, v1, v2
	v_and_b32_e32 v6, 7, v2
	v_cmp_ne_u32_e32 vcc_lo, 0, v1
	v_lshlrev_b32_e32 v5, 3, v5
	s_delay_alu instid0(VALU_DEP_1) | instskip(NEXT) | instid1(VALU_DEP_1)
	v_or3_b32 v3, v3, v5, v6
	v_lshlrev_b32_e32 v2, 24, v3
	s_wait_alu 0xfffd
	s_delay_alu instid0(VALU_DEP_1)
	v_cndmask_b32_e32 v30, 0, v2, vcc_lo
.LBB4_927:
	s_wait_alu 0xfffe
	s_or_b32 exec_lo, exec_lo, s6
.LBB4_928:
	s_wait_alu 0xfffe
	s_or_b32 exec_lo, exec_lo, s3
	ds_load_b128 v[24:27], v92 offset:16
	v_or_b32_e32 v31, v0, v4
	v_wmma_f32_16x16x16_fp8_fp8 v[0:7], v[20:21], v[16:17], 0
	v_dual_mov_b32 v17, 0x80 :: v_dual_add_nc_u32 v16, s2, v29
	s_delay_alu instid0(VALU_DEP_3)
	v_or3_b32 v20, v28, v31, v30
	s_mov_b32 s6, s1
	s_mov_b32 s3, exec_lo
	buffer_store_b32 v20, v16, s[4:7], null offen
	s_wait_dscnt 0x0
	v_and_b32_e32 v32, 0x7f800000, v24
	s_delay_alu instid0(VALU_DEP_1)
	v_cmpx_ne_u32_e32 0x7f800000, v32
	s_cbranch_execz .LBB4_936
; %bb.929:
	v_mov_b32_e32 v17, 0
	s_mov_b32 s6, exec_lo
	v_cmpx_ne_u32_e32 0, v24
	s_cbranch_execz .LBB4_935
; %bb.930:
	v_bfe_u32 v17, v24, 23, 8
	s_delay_alu instid0(VALU_DEP_1) | instskip(SKIP_2) | instid1(VALU_DEP_2)
	v_sub_nc_u32_e32 v21, 0x78, v17
	v_cmp_gt_u32_e32 vcc_lo, 0x79, v17
	s_wait_alu 0xfffd
	v_dual_cndmask_b32 v21, 0, v21 :: v_dual_and_b32 v20, 0x7fffff, v24
	s_delay_alu instid0(VALU_DEP_1) | instskip(SKIP_2) | instid1(VALU_DEP_2)
	v_or_b32_e32 v28, 0x800000, v20
	v_cmp_eq_u32_e32 vcc_lo, 0, v17
	s_wait_alu 0xfffd
	v_dual_cndmask_b32 v20, v28, v20 :: v_dual_add_nc_u32 v17, 0xffffff89, v17
	v_cndmask_b32_e64 v21, v21, 0x77, vcc_lo
	s_delay_alu instid0(VALU_DEP_2) | instskip(NEXT) | instid1(VALU_DEP_2)
	v_cndmask_b32_e64 v17, v17, 0xffffff8a, vcc_lo
	v_lshrrev_b32_e32 v29, v21, v20
	v_lshl_add_u32 v28, 0x100000, v21, -1
	v_lshlrev_b32_e64 v31, v21, 0x80000
	s_delay_alu instid0(VALU_DEP_4) | instskip(NEXT) | instid1(VALU_DEP_4)
	v_add_nc_u32_e32 v21, v21, v17
	v_bfe_u32 v30, v29, 20, 1
	s_delay_alu instid0(VALU_DEP_4) | instskip(NEXT) | instid1(VALU_DEP_2)
	v_and_b32_e32 v20, v28, v20
	v_add_nc_u32_e32 v28, -1, v30
	s_delay_alu instid0(VALU_DEP_2) | instskip(SKIP_1) | instid1(VALU_DEP_1)
	v_cmp_eq_u32_e64 s0, v20, v31
	s_wait_alu 0xf1ff
	v_cndmask_b32_e64 v20, 0, v28, s0
	v_lshrrev_b32_e32 v28, 23, v29
	s_mov_b32 s0, exec_lo
	s_delay_alu instid0(VALU_DEP_2) | instskip(NEXT) | instid1(VALU_DEP_2)
	v_add_nc_u32_e32 v20, v20, v29
	v_xor_b32_e32 v28, 1, v28
	s_delay_alu instid0(VALU_DEP_2) | instskip(NEXT) | instid1(VALU_DEP_1)
	v_and_b32_e32 v17, 0xfffff, v20
	v_add_nc_u32_e32 v20, v17, v29
                                        ; implicit-def: $vgpr17
	s_delay_alu instid0(VALU_DEP_3)
	v_cmpx_ne_u32_e64 v21, v28
	s_wait_alu 0xfffe
	s_xor_b32 s0, exec_lo, s0
; %bb.931:
	s_delay_alu instid0(VALU_DEP_2) | instskip(SKIP_3) | instid1(VALU_DEP_2)
	v_cmp_lt_u32_e32 vcc_lo, 0xffffff, v20
	v_sub_nc_u32_e32 v17, v21, v28
	s_wait_alu 0xfffd
	v_cndmask_b32_e64 v21, 0, 1, vcc_lo
	v_add_co_ci_u32_e64 v17, null, 0, v17, vcc_lo
	s_delay_alu instid0(VALU_DEP_2)
	v_lshrrev_b32_e32 v20, v21, v20
; %bb.932:
	s_wait_alu 0xfffe
	s_and_not1_saveexec_b32 s0, s0
; %bb.933:
	s_delay_alu instid0(VALU_DEP_1)
	v_bfe_u32 v17, v20, 23, 1
; %bb.934:
	s_wait_alu 0xfffe
	s_or_b32 exec_lo, exec_lo, s0
	v_lshrrev_b32_e32 v20, 20, v20
	s_delay_alu instid0(VALU_DEP_2) | instskip(SKIP_3) | instid1(VALU_DEP_3)
	v_min_i32_e32 v21, 15, v17
	v_cmp_gt_i32_e32 vcc_lo, 16, v17
	v_lshrrev_b32_e32 v24, 24, v24
	s_wait_alu 0xfffd
	v_dual_cndmask_b32 v20, 7, v20 :: v_dual_lshlrev_b32 v21, 3, v21
	s_delay_alu instid0(VALU_DEP_2) | instskip(NEXT) | instid1(VALU_DEP_2)
	v_and_b32_e32 v24, 0x80, v24
	v_and_b32_e32 v21, 0xf8, v21
	s_delay_alu instid0(VALU_DEP_3) | instskip(SKIP_1) | instid1(VALU_DEP_2)
	v_and_b32_e32 v28, 7, v20
	v_or_b32_e32 v17, v17, v20
	v_or3_b32 v20, v21, v24, v28
	s_delay_alu instid0(VALU_DEP_2) | instskip(SKIP_1) | instid1(VALU_DEP_2)
	v_cmp_ne_u32_e32 vcc_lo, 0, v17
	s_wait_alu 0xfffd
	v_cndmask_b32_e32 v17, 0, v20, vcc_lo
.LBB4_935:
	s_wait_alu 0xfffe
	s_or_b32 exec_lo, exec_lo, s6
.LBB4_936:
	s_delay_alu instid0(SALU_CYCLE_1) | instskip(SKIP_4) | instid1(VALU_DEP_3)
	s_or_b32 exec_lo, exec_lo, s3
	v_and_b32_e32 v20, 0x7f800000, v25
	v_wmma_f32_16x16x16_fp8_fp8 v[0:7], v[22:23], v[18:19], v[0:7]
	v_mov_b32_e32 v18, 0x8000
	s_mov_b32 s3, exec_lo
	v_cmpx_ne_u32_e32 0x7f800000, v20
	s_cbranch_execz .LBB4_944
; %bb.937:
	v_mov_b32_e32 v18, 0
	s_mov_b32 s6, exec_lo
	v_cmpx_ne_u32_e32 0, v25
	s_cbranch_execz .LBB4_943
; %bb.938:
	v_bfe_u32 v18, v25, 23, 8
	s_delay_alu instid0(VALU_DEP_1) | instskip(SKIP_2) | instid1(VALU_DEP_2)
	v_sub_nc_u32_e32 v20, 0x78, v18
	v_cmp_gt_u32_e32 vcc_lo, 0x79, v18
	s_wait_alu 0xfffd
	v_dual_cndmask_b32 v20, 0, v20 :: v_dual_and_b32 v19, 0x7fffff, v25
	s_delay_alu instid0(VALU_DEP_1) | instskip(SKIP_2) | instid1(VALU_DEP_2)
	v_or_b32_e32 v21, 0x800000, v19
	v_cmp_eq_u32_e32 vcc_lo, 0, v18
	s_wait_alu 0xfffd
	v_dual_cndmask_b32 v19, v21, v19 :: v_dual_add_nc_u32 v18, 0xffffff89, v18
	v_cndmask_b32_e64 v20, v20, 0x77, vcc_lo
	s_delay_alu instid0(VALU_DEP_2) | instskip(NEXT) | instid1(VALU_DEP_2)
	v_cndmask_b32_e64 v18, v18, 0xffffff8a, vcc_lo
	v_lshrrev_b32_e32 v22, v20, v19
	v_lshl_add_u32 v21, 0x100000, v20, -1
	v_lshlrev_b32_e64 v24, v20, 0x80000
	s_delay_alu instid0(VALU_DEP_4) | instskip(NEXT) | instid1(VALU_DEP_4)
	v_add_nc_u32_e32 v20, v20, v18
	v_bfe_u32 v23, v22, 20, 1
	s_delay_alu instid0(VALU_DEP_4) | instskip(NEXT) | instid1(VALU_DEP_2)
	v_and_b32_e32 v19, v21, v19
	v_add_nc_u32_e32 v21, -1, v23
	s_delay_alu instid0(VALU_DEP_2) | instskip(SKIP_1) | instid1(VALU_DEP_1)
	v_cmp_eq_u32_e64 s0, v19, v24
	s_wait_alu 0xf1ff
	v_cndmask_b32_e64 v19, 0, v21, s0
	v_lshrrev_b32_e32 v21, 23, v22
	s_mov_b32 s0, exec_lo
	s_delay_alu instid0(VALU_DEP_2) | instskip(NEXT) | instid1(VALU_DEP_2)
	v_add_nc_u32_e32 v19, v19, v22
	v_xor_b32_e32 v21, 1, v21
	s_delay_alu instid0(VALU_DEP_2) | instskip(NEXT) | instid1(VALU_DEP_1)
	v_and_b32_e32 v18, 0xfffff, v19
	v_add_nc_u32_e32 v19, v18, v22
                                        ; implicit-def: $vgpr18
	s_delay_alu instid0(VALU_DEP_3)
	v_cmpx_ne_u32_e64 v20, v21
	s_wait_alu 0xfffe
	s_xor_b32 s0, exec_lo, s0
; %bb.939:
	s_delay_alu instid0(VALU_DEP_2) | instskip(SKIP_3) | instid1(VALU_DEP_2)
	v_cmp_lt_u32_e32 vcc_lo, 0xffffff, v19
	v_sub_nc_u32_e32 v18, v20, v21
	s_wait_alu 0xfffd
	v_cndmask_b32_e64 v20, 0, 1, vcc_lo
	v_add_co_ci_u32_e64 v18, null, 0, v18, vcc_lo
	s_delay_alu instid0(VALU_DEP_2)
	v_lshrrev_b32_e32 v19, v20, v19
; %bb.940:
	s_wait_alu 0xfffe
	s_and_not1_saveexec_b32 s0, s0
; %bb.941:
	s_delay_alu instid0(VALU_DEP_1)
	v_bfe_u32 v18, v19, 23, 1
; %bb.942:
	s_wait_alu 0xfffe
	s_or_b32 exec_lo, exec_lo, s0
	v_lshrrev_b32_e32 v19, 20, v19
	s_delay_alu instid0(VALU_DEP_2) | instskip(SKIP_3) | instid1(VALU_DEP_2)
	v_cmp_gt_i32_e32 vcc_lo, 16, v18
	v_min_i32_e32 v20, 15, v18
	v_lshrrev_b32_e32 v21, 24, v25
	s_wait_alu 0xfffd
	v_dual_cndmask_b32 v19, 7, v19 :: v_dual_lshlrev_b32 v20, 3, v20
	s_delay_alu instid0(VALU_DEP_1) | instskip(SKIP_1) | instid1(VALU_DEP_3)
	v_or_b32_e32 v18, v18, v19
	v_and_b32_e32 v22, 7, v19
	v_and_b32_e32 v20, 0xf8, v20
	s_delay_alu instid0(VALU_DEP_3) | instskip(SKIP_1) | instid1(VALU_DEP_1)
	v_cmp_ne_u32_e32 vcc_lo, 0, v18
	v_and_b32_e32 v21, 0x80, v21
	v_or3_b32 v20, v21, v20, v22
	s_delay_alu instid0(VALU_DEP_1) | instskip(SKIP_1) | instid1(VALU_DEP_1)
	v_lshlrev_b32_e32 v19, 8, v20
	s_wait_alu 0xfffd
	v_cndmask_b32_e32 v18, 0, v19, vcc_lo
.LBB4_943:
	s_wait_alu 0xfffe
	s_or_b32 exec_lo, exec_lo, s6
.LBB4_944:
	s_wait_alu 0xfffe
	s_or_b32 exec_lo, exec_lo, s3
	v_and_b32_e32 v19, 0x7f800000, v26
	v_wmma_f32_16x16x16_fp8_fp8 v[0:7], v[12:13], v[8:9], v[0:7]
	v_mov_b32_e32 v8, 0x800000
	s_mov_b32 s3, exec_lo
	s_delay_alu instid0(VALU_DEP_3)
	v_cmpx_ne_u32_e32 0x7f800000, v19
	s_cbranch_execz .LBB4_952
; %bb.945:
	v_mov_b32_e32 v8, 0
	s_mov_b32 s6, exec_lo
	v_cmpx_ne_u32_e32 0, v26
	s_cbranch_execz .LBB4_951
; %bb.946:
	v_bfe_u32 v8, v26, 23, 8
	s_delay_alu instid0(VALU_DEP_1) | instskip(SKIP_2) | instid1(VALU_DEP_2)
	v_sub_nc_u32_e32 v12, 0x78, v8
	v_cmp_gt_u32_e32 vcc_lo, 0x79, v8
	s_wait_alu 0xfffd
	v_dual_cndmask_b32 v12, 0, v12 :: v_dual_and_b32 v9, 0x7fffff, v26
	s_delay_alu instid0(VALU_DEP_1) | instskip(SKIP_2) | instid1(VALU_DEP_2)
	v_or_b32_e32 v13, 0x800000, v9
	v_cmp_eq_u32_e32 vcc_lo, 0, v8
	s_wait_alu 0xfffd
	v_dual_cndmask_b32 v9, v13, v9 :: v_dual_add_nc_u32 v8, 0xffffff89, v8
	v_cndmask_b32_e64 v12, v12, 0x77, vcc_lo
	s_delay_alu instid0(VALU_DEP_2) | instskip(NEXT) | instid1(VALU_DEP_2)
	v_cndmask_b32_e64 v8, v8, 0xffffff8a, vcc_lo
	v_lshrrev_b32_e32 v19, v12, v9
	v_lshl_add_u32 v13, 0x100000, v12, -1
	v_lshlrev_b32_e64 v21, v12, 0x80000
	s_delay_alu instid0(VALU_DEP_4) | instskip(NEXT) | instid1(VALU_DEP_4)
	v_add_nc_u32_e32 v12, v12, v8
	v_bfe_u32 v20, v19, 20, 1
	s_delay_alu instid0(VALU_DEP_4) | instskip(NEXT) | instid1(VALU_DEP_2)
	v_and_b32_e32 v9, v13, v9
	v_add_nc_u32_e32 v13, -1, v20
	s_delay_alu instid0(VALU_DEP_2) | instskip(SKIP_1) | instid1(VALU_DEP_1)
	v_cmp_eq_u32_e64 s0, v9, v21
	s_wait_alu 0xf1ff
	v_cndmask_b32_e64 v9, 0, v13, s0
	v_lshrrev_b32_e32 v13, 23, v19
	s_mov_b32 s0, exec_lo
	s_delay_alu instid0(VALU_DEP_2) | instskip(NEXT) | instid1(VALU_DEP_2)
	v_add_nc_u32_e32 v9, v9, v19
	v_xor_b32_e32 v13, 1, v13
	s_delay_alu instid0(VALU_DEP_2) | instskip(NEXT) | instid1(VALU_DEP_1)
	v_and_b32_e32 v8, 0xfffff, v9
	v_add_nc_u32_e32 v9, v8, v19
                                        ; implicit-def: $vgpr8
	s_delay_alu instid0(VALU_DEP_3)
	v_cmpx_ne_u32_e64 v12, v13
	s_wait_alu 0xfffe
	s_xor_b32 s0, exec_lo, s0
; %bb.947:
	s_delay_alu instid0(VALU_DEP_2) | instskip(SKIP_3) | instid1(VALU_DEP_2)
	v_cmp_lt_u32_e32 vcc_lo, 0xffffff, v9
	v_sub_nc_u32_e32 v8, v12, v13
	s_wait_alu 0xfffd
	v_cndmask_b32_e64 v12, 0, 1, vcc_lo
	v_add_co_ci_u32_e64 v8, null, 0, v8, vcc_lo
	s_delay_alu instid0(VALU_DEP_2)
	v_lshrrev_b32_e32 v9, v12, v9
; %bb.948:
	s_wait_alu 0xfffe
	s_and_not1_saveexec_b32 s0, s0
; %bb.949:
	s_delay_alu instid0(VALU_DEP_1)
	v_bfe_u32 v8, v9, 23, 1
; %bb.950:
	s_wait_alu 0xfffe
	s_or_b32 exec_lo, exec_lo, s0
	v_lshrrev_b32_e32 v9, 20, v9
	s_delay_alu instid0(VALU_DEP_2) | instskip(SKIP_3) | instid1(VALU_DEP_3)
	v_min_i32_e32 v12, 15, v8
	v_cmp_gt_i32_e32 vcc_lo, 16, v8
	v_lshrrev_b32_e32 v13, 24, v26
	s_wait_alu 0xfffd
	v_dual_cndmask_b32 v9, 7, v9 :: v_dual_lshlrev_b32 v12, 3, v12
	s_delay_alu instid0(VALU_DEP_2) | instskip(NEXT) | instid1(VALU_DEP_2)
	v_and_b32_e32 v13, 0x80, v13
	v_and_b32_e32 v12, 0xf8, v12
	s_delay_alu instid0(VALU_DEP_3) | instskip(SKIP_1) | instid1(VALU_DEP_2)
	v_and_b32_e32 v19, 7, v9
	v_or_b32_e32 v8, v8, v9
	v_or3_b32 v12, v13, v12, v19
	s_delay_alu instid0(VALU_DEP_2) | instskip(NEXT) | instid1(VALU_DEP_2)
	v_cmp_ne_u32_e32 vcc_lo, 0, v8
	v_lshlrev_b32_e32 v9, 16, v12
	s_wait_alu 0xfffd
	s_delay_alu instid0(VALU_DEP_1)
	v_cndmask_b32_e32 v8, 0, v9, vcc_lo
.LBB4_951:
	s_wait_alu 0xfffe
	s_or_b32 exec_lo, exec_lo, s6
.LBB4_952:
	s_wait_alu 0xfffe
	s_or_b32 exec_lo, exec_lo, s3
	v_and_b32_e32 v9, 0x7f800000, v27
	v_wmma_f32_16x16x16_fp8_fp8 v[0:7], v[14:15], v[10:11], v[0:7]
	s_delay_alu instid0(VALU_DEP_2)
	v_cmp_ne_u32_e32 vcc_lo, 0x7f800000, v9
	v_bfrev_b32_e32 v9, 1
	s_and_saveexec_b32 s3, vcc_lo
	s_cbranch_execz .LBB4_960
; %bb.953:
	v_mov_b32_e32 v9, 0
	s_mov_b32 s6, exec_lo
	v_cmpx_ne_u32_e32 0, v27
	s_cbranch_execz .LBB4_959
; %bb.954:
	v_bfe_u32 v9, v27, 23, 8
	v_and_b32_e32 v10, 0x7fffff, v27
	s_delay_alu instid0(VALU_DEP_2) | instskip(SKIP_1) | instid1(VALU_DEP_3)
	v_sub_nc_u32_e32 v11, 0x78, v9
	v_cmp_gt_u32_e32 vcc_lo, 0x79, v9
	v_or_b32_e32 v12, 0x800000, v10
	s_wait_alu 0xfffd
	s_delay_alu instid0(VALU_DEP_3) | instskip(SKIP_3) | instid1(VALU_DEP_3)
	v_cndmask_b32_e32 v11, 0, v11, vcc_lo
	v_cmp_eq_u32_e32 vcc_lo, 0, v9
	s_wait_alu 0xfffd
	v_dual_cndmask_b32 v10, v12, v10 :: v_dual_add_nc_u32 v9, 0xffffff89, v9
	v_cndmask_b32_e64 v11, v11, 0x77, vcc_lo
	s_delay_alu instid0(VALU_DEP_2) | instskip(NEXT) | instid1(VALU_DEP_2)
	v_cndmask_b32_e64 v9, v9, 0xffffff8a, vcc_lo
	v_lshrrev_b32_e32 v13, v11, v10
	v_lshl_add_u32 v12, 0x100000, v11, -1
	v_lshlrev_b32_e64 v15, v11, 0x80000
	s_delay_alu instid0(VALU_DEP_4) | instskip(NEXT) | instid1(VALU_DEP_4)
	v_add_nc_u32_e32 v11, v11, v9
	v_bfe_u32 v14, v13, 20, 1
	s_delay_alu instid0(VALU_DEP_4) | instskip(NEXT) | instid1(VALU_DEP_2)
	v_and_b32_e32 v10, v12, v10
	v_add_nc_u32_e32 v12, -1, v14
	s_delay_alu instid0(VALU_DEP_2) | instskip(SKIP_1) | instid1(VALU_DEP_1)
	v_cmp_eq_u32_e64 s0, v10, v15
	s_wait_alu 0xf1ff
	v_cndmask_b32_e64 v10, 0, v12, s0
	v_lshrrev_b32_e32 v12, 23, v13
	s_mov_b32 s0, exec_lo
	s_delay_alu instid0(VALU_DEP_2) | instskip(NEXT) | instid1(VALU_DEP_2)
	v_add_nc_u32_e32 v10, v10, v13
	v_xor_b32_e32 v12, 1, v12
	s_delay_alu instid0(VALU_DEP_2) | instskip(NEXT) | instid1(VALU_DEP_1)
	v_and_b32_e32 v9, 0xfffff, v10
	v_add_nc_u32_e32 v10, v9, v13
                                        ; implicit-def: $vgpr9
	s_delay_alu instid0(VALU_DEP_3)
	v_cmpx_ne_u32_e64 v11, v12
	s_wait_alu 0xfffe
	s_xor_b32 s0, exec_lo, s0
; %bb.955:
	s_delay_alu instid0(VALU_DEP_2) | instskip(SKIP_3) | instid1(VALU_DEP_2)
	v_cmp_lt_u32_e32 vcc_lo, 0xffffff, v10
	v_sub_nc_u32_e32 v9, v11, v12
	s_wait_alu 0xfffd
	v_cndmask_b32_e64 v11, 0, 1, vcc_lo
	v_add_co_ci_u32_e64 v9, null, 0, v9, vcc_lo
	s_delay_alu instid0(VALU_DEP_2)
	v_lshrrev_b32_e32 v10, v11, v10
; %bb.956:
	s_wait_alu 0xfffe
	s_and_not1_saveexec_b32 s0, s0
; %bb.957:
	s_delay_alu instid0(VALU_DEP_1)
	v_bfe_u32 v9, v10, 23, 1
; %bb.958:
	s_wait_alu 0xfffe
	s_or_b32 exec_lo, exec_lo, s0
	v_lshrrev_b32_e32 v10, 20, v10
	s_delay_alu instid0(VALU_DEP_2) | instskip(SKIP_3) | instid1(VALU_DEP_2)
	v_cmp_gt_i32_e32 vcc_lo, 16, v9
	v_lshrrev_b32_e32 v11, 24, v27
	v_min_i32_e32 v12, 15, v9
	s_wait_alu 0xfffd
	v_dual_cndmask_b32 v10, 7, v10 :: v_dual_and_b32 v11, 0x80, v11
	s_delay_alu instid0(VALU_DEP_1) | instskip(SKIP_1) | instid1(VALU_DEP_2)
	v_or_b32_e32 v9, v9, v10
	v_and_b32_e32 v13, 7, v10
	v_cmp_ne_u32_e32 vcc_lo, 0, v9
	v_lshlrev_b32_e32 v12, 3, v12
	s_delay_alu instid0(VALU_DEP_1) | instskip(NEXT) | instid1(VALU_DEP_1)
	v_or3_b32 v11, v11, v12, v13
	v_lshlrev_b32_e32 v10, 24, v11
	s_wait_alu 0xfffd
	s_delay_alu instid0(VALU_DEP_1)
	v_cndmask_b32_e32 v9, 0, v10, vcc_lo
.LBB4_959:
	s_wait_alu 0xfffe
	s_or_b32 exec_lo, exec_lo, s6
.LBB4_960:
	s_wait_alu 0xfffe
	s_or_b32 exec_lo, exec_lo, s3
	v_or_b32_e32 v10, v18, v17
	s_mov_b32 s6, s1
	s_delay_alu instid0(VALU_DEP_1)
	v_or3_b32 v8, v8, v10, v9
	buffer_store_b32 v8, v16, s[4:7], null offen offset:4
	s_wait_dscnt 0x0
	s_barrier_signal -1
	s_barrier_wait -1
	ds_store_2addr_stride64_b32 v93, v0, v1 offset1:1
	ds_store_2addr_stride64_b32 v93, v2, v3 offset0:2 offset1:3
	ds_store_2addr_stride64_b32 v93, v4, v5 offset0:4 offset1:5
	;; [unrolled: 1-line block ×3, first 2 shown]
	s_wait_dscnt 0x0
	s_barrier_signal -1
	s_barrier_wait -1
	ds_load_b128 v[0:3], v92
	s_wait_dscnt 0x0
	v_and_b32_e32 v4, 0x7f800000, v0
	s_delay_alu instid0(VALU_DEP_1)
	v_cmp_ne_u32_e32 vcc_lo, 0x7f800000, v4
	v_mov_b32_e32 v4, 0x80
	s_and_saveexec_b32 s3, vcc_lo
	s_cbranch_execz .LBB4_968
; %bb.961:
	v_mov_b32_e32 v4, 0
	s_mov_b32 s6, exec_lo
	v_cmpx_ne_u32_e32 0, v0
	s_cbranch_execz .LBB4_967
; %bb.962:
	v_bfe_u32 v4, v0, 23, 8
	s_delay_alu instid0(VALU_DEP_1) | instskip(SKIP_2) | instid1(VALU_DEP_2)
	v_sub_nc_u32_e32 v6, 0x78, v4
	v_cmp_gt_u32_e32 vcc_lo, 0x79, v4
	s_wait_alu 0xfffd
	v_dual_cndmask_b32 v6, 0, v6 :: v_dual_and_b32 v5, 0x7fffff, v0
	s_delay_alu instid0(VALU_DEP_1) | instskip(SKIP_2) | instid1(VALU_DEP_2)
	v_or_b32_e32 v7, 0x800000, v5
	v_cmp_eq_u32_e32 vcc_lo, 0, v4
	s_wait_alu 0xfffd
	v_dual_cndmask_b32 v5, v7, v5 :: v_dual_add_nc_u32 v4, 0xffffff89, v4
	v_cndmask_b32_e64 v6, v6, 0x77, vcc_lo
	s_delay_alu instid0(VALU_DEP_2) | instskip(NEXT) | instid1(VALU_DEP_2)
	v_cndmask_b32_e64 v4, v4, 0xffffff8a, vcc_lo
	v_lshrrev_b32_e32 v8, v6, v5
	v_lshl_add_u32 v7, 0x100000, v6, -1
	v_lshlrev_b32_e64 v10, v6, 0x80000
	s_delay_alu instid0(VALU_DEP_4) | instskip(NEXT) | instid1(VALU_DEP_4)
	v_add_nc_u32_e32 v6, v6, v4
	v_bfe_u32 v9, v8, 20, 1
	s_delay_alu instid0(VALU_DEP_4) | instskip(NEXT) | instid1(VALU_DEP_2)
	v_and_b32_e32 v5, v7, v5
	v_add_nc_u32_e32 v7, -1, v9
	s_delay_alu instid0(VALU_DEP_2) | instskip(SKIP_1) | instid1(VALU_DEP_1)
	v_cmp_eq_u32_e64 s0, v5, v10
	s_wait_alu 0xf1ff
	v_cndmask_b32_e64 v5, 0, v7, s0
	v_lshrrev_b32_e32 v7, 23, v8
	s_mov_b32 s0, exec_lo
	s_delay_alu instid0(VALU_DEP_2) | instskip(NEXT) | instid1(VALU_DEP_2)
	v_add_nc_u32_e32 v5, v5, v8
	v_xor_b32_e32 v7, 1, v7
	s_delay_alu instid0(VALU_DEP_2) | instskip(NEXT) | instid1(VALU_DEP_1)
	v_and_b32_e32 v4, 0xfffff, v5
	v_add_nc_u32_e32 v5, v4, v8
                                        ; implicit-def: $vgpr4
	s_delay_alu instid0(VALU_DEP_3)
	v_cmpx_ne_u32_e64 v6, v7
	s_wait_alu 0xfffe
	s_xor_b32 s0, exec_lo, s0
; %bb.963:
	s_delay_alu instid0(VALU_DEP_2) | instskip(SKIP_3) | instid1(VALU_DEP_2)
	v_cmp_lt_u32_e32 vcc_lo, 0xffffff, v5
	v_sub_nc_u32_e32 v4, v6, v7
	s_wait_alu 0xfffd
	v_cndmask_b32_e64 v6, 0, 1, vcc_lo
	v_add_co_ci_u32_e64 v4, null, 0, v4, vcc_lo
	s_delay_alu instid0(VALU_DEP_2)
	v_lshrrev_b32_e32 v5, v6, v5
; %bb.964:
	s_wait_alu 0xfffe
	s_and_not1_saveexec_b32 s0, s0
; %bb.965:
	s_delay_alu instid0(VALU_DEP_1)
	v_bfe_u32 v4, v5, 23, 1
; %bb.966:
	s_wait_alu 0xfffe
	s_or_b32 exec_lo, exec_lo, s0
	v_lshrrev_b32_e32 v5, 20, v5
	s_delay_alu instid0(VALU_DEP_2) | instskip(SKIP_3) | instid1(VALU_DEP_2)
	v_cmp_gt_i32_e32 vcc_lo, 16, v4
	v_min_i32_e32 v6, 15, v4
	v_lshrrev_b32_e32 v0, 24, v0
	s_wait_alu 0xfffd
	v_dual_cndmask_b32 v5, 7, v5 :: v_dual_lshlrev_b32 v6, 3, v6
	s_delay_alu instid0(VALU_DEP_2) | instskip(NEXT) | instid1(VALU_DEP_2)
	v_and_b32_e32 v0, 0x80, v0
	v_or_b32_e32 v4, v4, v5
	s_delay_alu instid0(VALU_DEP_3) | instskip(NEXT) | instid1(VALU_DEP_2)
	v_and_b32_e32 v6, 0xf8, v6
	v_cmp_ne_u32_e32 vcc_lo, 0, v4
	v_and_b32_e32 v7, 7, v5
	s_delay_alu instid0(VALU_DEP_1) | instskip(SKIP_1) | instid1(VALU_DEP_1)
	v_or3_b32 v0, v6, v0, v7
	s_wait_alu 0xfffd
	v_cndmask_b32_e32 v4, 0, v0, vcc_lo
.LBB4_967:
	s_wait_alu 0xfffe
	s_or_b32 exec_lo, exec_lo, s6
.LBB4_968:
	s_wait_alu 0xfffe
	s_or_b32 exec_lo, exec_lo, s3
	v_and_b32_e32 v0, 0x7f800000, v1
	v_mov_b32_e32 v5, 0x8000
	s_mov_b32 s3, exec_lo
	s_delay_alu instid0(VALU_DEP_2)
	v_cmpx_ne_u32_e32 0x7f800000, v0
	s_cbranch_execz .LBB4_976
; %bb.969:
	v_mov_b32_e32 v5, 0
	s_mov_b32 s6, exec_lo
	v_cmpx_ne_u32_e32 0, v1
	s_cbranch_execz .LBB4_975
; %bb.970:
	v_bfe_u32 v0, v1, 23, 8
	s_delay_alu instid0(VALU_DEP_1) | instskip(SKIP_2) | instid1(VALU_DEP_2)
	v_sub_nc_u32_e32 v6, 0x78, v0
	v_cmp_gt_u32_e32 vcc_lo, 0x79, v0
	s_wait_alu 0xfffd
	v_dual_cndmask_b32 v6, 0, v6 :: v_dual_and_b32 v5, 0x7fffff, v1
	s_delay_alu instid0(VALU_DEP_1) | instskip(SKIP_2) | instid1(VALU_DEP_2)
	v_or_b32_e32 v7, 0x800000, v5
	v_cmp_eq_u32_e32 vcc_lo, 0, v0
	s_wait_alu 0xfffd
	v_dual_cndmask_b32 v5, v7, v5 :: v_dual_add_nc_u32 v0, 0xffffff89, v0
	v_cndmask_b32_e64 v6, v6, 0x77, vcc_lo
	s_delay_alu instid0(VALU_DEP_2) | instskip(NEXT) | instid1(VALU_DEP_2)
	v_cndmask_b32_e64 v0, v0, 0xffffff8a, vcc_lo
	v_lshrrev_b32_e32 v8, v6, v5
	v_lshl_add_u32 v7, 0x100000, v6, -1
	v_lshlrev_b32_e64 v10, v6, 0x80000
	s_delay_alu instid0(VALU_DEP_4) | instskip(NEXT) | instid1(VALU_DEP_4)
	v_add_nc_u32_e32 v6, v6, v0
	v_bfe_u32 v9, v8, 20, 1
	s_delay_alu instid0(VALU_DEP_4) | instskip(NEXT) | instid1(VALU_DEP_2)
	v_and_b32_e32 v5, v7, v5
	v_add_nc_u32_e32 v7, -1, v9
	s_delay_alu instid0(VALU_DEP_2) | instskip(SKIP_1) | instid1(VALU_DEP_1)
	v_cmp_eq_u32_e64 s0, v5, v10
	s_wait_alu 0xf1ff
	v_cndmask_b32_e64 v5, 0, v7, s0
	v_lshrrev_b32_e32 v7, 23, v8
	s_mov_b32 s0, exec_lo
	s_delay_alu instid0(VALU_DEP_2) | instskip(NEXT) | instid1(VALU_DEP_2)
	v_add_nc_u32_e32 v5, v5, v8
	v_xor_b32_e32 v7, 1, v7
	s_delay_alu instid0(VALU_DEP_2) | instskip(NEXT) | instid1(VALU_DEP_1)
	v_and_b32_e32 v0, 0xfffff, v5
	v_add_nc_u32_e32 v5, v0, v8
                                        ; implicit-def: $vgpr0
	s_delay_alu instid0(VALU_DEP_3)
	v_cmpx_ne_u32_e64 v6, v7
	s_wait_alu 0xfffe
	s_xor_b32 s0, exec_lo, s0
; %bb.971:
	s_delay_alu instid0(VALU_DEP_2) | instskip(SKIP_3) | instid1(VALU_DEP_2)
	v_cmp_lt_u32_e32 vcc_lo, 0xffffff, v5
	v_sub_nc_u32_e32 v0, v6, v7
	s_wait_alu 0xfffd
	v_cndmask_b32_e64 v6, 0, 1, vcc_lo
	v_add_co_ci_u32_e64 v0, null, 0, v0, vcc_lo
	s_delay_alu instid0(VALU_DEP_2)
	v_lshrrev_b32_e32 v5, v6, v5
; %bb.972:
	s_wait_alu 0xfffe
	s_and_not1_saveexec_b32 s0, s0
; %bb.973:
	s_delay_alu instid0(VALU_DEP_1)
	v_bfe_u32 v0, v5, 23, 1
; %bb.974:
	s_wait_alu 0xfffe
	s_or_b32 exec_lo, exec_lo, s0
	v_lshrrev_b32_e32 v5, 20, v5
	s_delay_alu instid0(VALU_DEP_2) | instskip(SKIP_3) | instid1(VALU_DEP_2)
	v_cmp_gt_i32_e32 vcc_lo, 16, v0
	v_min_i32_e32 v6, 15, v0
	v_lshrrev_b32_e32 v1, 24, v1
	s_wait_alu 0xfffd
	v_dual_cndmask_b32 v5, 7, v5 :: v_dual_lshlrev_b32 v6, 3, v6
	s_delay_alu instid0(VALU_DEP_2) | instskip(NEXT) | instid1(VALU_DEP_2)
	v_and_b32_e32 v1, 0x80, v1
	v_or_b32_e32 v0, v0, v5
	v_and_b32_e32 v7, 7, v5
	s_delay_alu instid0(VALU_DEP_2) | instskip(SKIP_1) | instid1(VALU_DEP_1)
	v_cmp_ne_u32_e32 vcc_lo, 0, v0
	v_and_b32_e32 v6, 0xf8, v6
	v_or3_b32 v1, v1, v6, v7
	s_delay_alu instid0(VALU_DEP_1) | instskip(SKIP_1) | instid1(VALU_DEP_1)
	v_lshlrev_b32_e32 v1, 8, v1
	s_wait_alu 0xfffd
	v_cndmask_b32_e32 v5, 0, v1, vcc_lo
.LBB4_975:
	s_wait_alu 0xfffe
	s_or_b32 exec_lo, exec_lo, s6
.LBB4_976:
	s_wait_alu 0xfffe
	s_or_b32 exec_lo, exec_lo, s3
	v_and_b32_e32 v0, 0x7f800000, v2
	v_mov_b32_e32 v6, 0x800000
	s_mov_b32 s3, exec_lo
	s_delay_alu instid0(VALU_DEP_2)
	v_cmpx_ne_u32_e32 0x7f800000, v0
	s_cbranch_execz .LBB4_984
; %bb.977:
	v_mov_b32_e32 v6, 0
	s_mov_b32 s6, exec_lo
	v_cmpx_ne_u32_e32 0, v2
	s_cbranch_execz .LBB4_983
; %bb.978:
	v_bfe_u32 v0, v2, 23, 8
	v_and_b32_e32 v1, 0x7fffff, v2
	s_delay_alu instid0(VALU_DEP_2) | instskip(SKIP_1) | instid1(VALU_DEP_3)
	v_sub_nc_u32_e32 v6, 0x78, v0
	v_cmp_gt_u32_e32 vcc_lo, 0x79, v0
	v_or_b32_e32 v7, 0x800000, v1
	s_wait_alu 0xfffd
	s_delay_alu instid0(VALU_DEP_3) | instskip(SKIP_3) | instid1(VALU_DEP_3)
	v_cndmask_b32_e32 v6, 0, v6, vcc_lo
	v_cmp_eq_u32_e32 vcc_lo, 0, v0
	s_wait_alu 0xfffd
	v_dual_cndmask_b32 v1, v7, v1 :: v_dual_add_nc_u32 v0, 0xffffff89, v0
	v_cndmask_b32_e64 v6, v6, 0x77, vcc_lo
	s_delay_alu instid0(VALU_DEP_2) | instskip(NEXT) | instid1(VALU_DEP_2)
	v_cndmask_b32_e64 v0, v0, 0xffffff8a, vcc_lo
	v_lshrrev_b32_e32 v8, v6, v1
	v_lshl_add_u32 v7, 0x100000, v6, -1
	v_lshlrev_b32_e64 v10, v6, 0x80000
	s_delay_alu instid0(VALU_DEP_4) | instskip(NEXT) | instid1(VALU_DEP_4)
	v_add_nc_u32_e32 v6, v6, v0
	v_bfe_u32 v9, v8, 20, 1
	s_delay_alu instid0(VALU_DEP_4) | instskip(NEXT) | instid1(VALU_DEP_2)
	v_and_b32_e32 v1, v7, v1
	v_add_nc_u32_e32 v7, -1, v9
	s_delay_alu instid0(VALU_DEP_2) | instskip(SKIP_1) | instid1(VALU_DEP_1)
	v_cmp_eq_u32_e64 s0, v1, v10
	s_wait_alu 0xf1ff
	v_cndmask_b32_e64 v1, 0, v7, s0
	v_lshrrev_b32_e32 v7, 23, v8
	s_mov_b32 s0, exec_lo
	s_delay_alu instid0(VALU_DEP_2) | instskip(NEXT) | instid1(VALU_DEP_2)
	v_add_nc_u32_e32 v1, v1, v8
	v_xor_b32_e32 v7, 1, v7
	s_delay_alu instid0(VALU_DEP_2) | instskip(NEXT) | instid1(VALU_DEP_1)
	v_and_b32_e32 v0, 0xfffff, v1
	v_add_nc_u32_e32 v1, v0, v8
                                        ; implicit-def: $vgpr0
	s_delay_alu instid0(VALU_DEP_3)
	v_cmpx_ne_u32_e64 v6, v7
	s_wait_alu 0xfffe
	s_xor_b32 s0, exec_lo, s0
; %bb.979:
	s_delay_alu instid0(VALU_DEP_2) | instskip(SKIP_3) | instid1(VALU_DEP_2)
	v_cmp_lt_u32_e32 vcc_lo, 0xffffff, v1
	v_sub_nc_u32_e32 v0, v6, v7
	s_wait_alu 0xfffd
	v_cndmask_b32_e64 v6, 0, 1, vcc_lo
	v_add_co_ci_u32_e64 v0, null, 0, v0, vcc_lo
	s_delay_alu instid0(VALU_DEP_2)
	v_lshrrev_b32_e32 v1, v6, v1
; %bb.980:
	s_wait_alu 0xfffe
	s_and_not1_saveexec_b32 s0, s0
; %bb.981:
	s_delay_alu instid0(VALU_DEP_1)
	v_bfe_u32 v0, v1, 23, 1
; %bb.982:
	s_wait_alu 0xfffe
	s_or_b32 exec_lo, exec_lo, s0
	v_lshrrev_b32_e32 v1, 20, v1
	s_delay_alu instid0(VALU_DEP_2) | instskip(SKIP_3) | instid1(VALU_DEP_3)
	v_min_i32_e32 v6, 15, v0
	v_cmp_gt_i32_e32 vcc_lo, 16, v0
	v_lshrrev_b32_e32 v2, 24, v2
	s_wait_alu 0xfffd
	v_dual_cndmask_b32 v1, 7, v1 :: v_dual_lshlrev_b32 v6, 3, v6
	s_delay_alu instid0(VALU_DEP_2) | instskip(NEXT) | instid1(VALU_DEP_2)
	v_and_b32_e32 v2, 0x80, v2
	v_and_b32_e32 v6, 0xf8, v6
	s_delay_alu instid0(VALU_DEP_3) | instskip(SKIP_1) | instid1(VALU_DEP_2)
	v_and_b32_e32 v7, 7, v1
	v_or_b32_e32 v0, v0, v1
	v_or3_b32 v2, v2, v6, v7
	s_delay_alu instid0(VALU_DEP_2) | instskip(NEXT) | instid1(VALU_DEP_2)
	v_cmp_ne_u32_e32 vcc_lo, 0, v0
	v_lshlrev_b32_e32 v1, 16, v2
	s_wait_alu 0xfffd
	s_delay_alu instid0(VALU_DEP_1)
	v_cndmask_b32_e32 v6, 0, v1, vcc_lo
.LBB4_983:
	s_wait_alu 0xfffe
	s_or_b32 exec_lo, exec_lo, s6
.LBB4_984:
	s_wait_alu 0xfffe
	s_or_b32 exec_lo, exec_lo, s3
	v_and_b32_e32 v0, 0x7f800000, v3
	v_bfrev_b32_e32 v7, 1
	s_mov_b32 s3, exec_lo
	s_delay_alu instid0(VALU_DEP_2)
	v_cmpx_ne_u32_e32 0x7f800000, v0
	s_cbranch_execz .LBB4_992
; %bb.985:
	v_mov_b32_e32 v7, 0
	s_mov_b32 s6, exec_lo
	v_cmpx_ne_u32_e32 0, v3
	s_cbranch_execz .LBB4_991
; %bb.986:
	v_bfe_u32 v0, v3, 23, 8
	s_delay_alu instid0(VALU_DEP_1) | instskip(SKIP_2) | instid1(VALU_DEP_2)
	v_sub_nc_u32_e32 v2, 0x78, v0
	v_cmp_gt_u32_e32 vcc_lo, 0x79, v0
	s_wait_alu 0xfffd
	v_dual_cndmask_b32 v2, 0, v2 :: v_dual_and_b32 v1, 0x7fffff, v3
	s_delay_alu instid0(VALU_DEP_1) | instskip(SKIP_2) | instid1(VALU_DEP_2)
	v_or_b32_e32 v7, 0x800000, v1
	v_cmp_eq_u32_e32 vcc_lo, 0, v0
	s_wait_alu 0xfffd
	v_dual_cndmask_b32 v1, v7, v1 :: v_dual_add_nc_u32 v0, 0xffffff89, v0
	v_cndmask_b32_e64 v2, v2, 0x77, vcc_lo
	s_delay_alu instid0(VALU_DEP_2) | instskip(NEXT) | instid1(VALU_DEP_2)
	v_cndmask_b32_e64 v0, v0, 0xffffff8a, vcc_lo
	v_lshrrev_b32_e32 v8, v2, v1
	v_lshl_add_u32 v7, 0x100000, v2, -1
	v_lshlrev_b32_e64 v10, v2, 0x80000
	s_delay_alu instid0(VALU_DEP_4) | instskip(NEXT) | instid1(VALU_DEP_4)
	v_add_nc_u32_e32 v2, v2, v0
	v_bfe_u32 v9, v8, 20, 1
	s_delay_alu instid0(VALU_DEP_4) | instskip(NEXT) | instid1(VALU_DEP_2)
	v_and_b32_e32 v1, v7, v1
	v_add_nc_u32_e32 v7, -1, v9
	s_delay_alu instid0(VALU_DEP_2) | instskip(SKIP_1) | instid1(VALU_DEP_1)
	v_cmp_eq_u32_e64 s0, v1, v10
	s_wait_alu 0xf1ff
	v_cndmask_b32_e64 v1, 0, v7, s0
	v_lshrrev_b32_e32 v7, 23, v8
	s_mov_b32 s0, exec_lo
	s_delay_alu instid0(VALU_DEP_2) | instskip(NEXT) | instid1(VALU_DEP_2)
	v_add_nc_u32_e32 v1, v1, v8
	v_xor_b32_e32 v7, 1, v7
	s_delay_alu instid0(VALU_DEP_2) | instskip(NEXT) | instid1(VALU_DEP_1)
	v_and_b32_e32 v0, 0xfffff, v1
	v_add_nc_u32_e32 v1, v0, v8
                                        ; implicit-def: $vgpr0
	s_delay_alu instid0(VALU_DEP_3)
	v_cmpx_ne_u32_e64 v2, v7
	s_wait_alu 0xfffe
	s_xor_b32 s0, exec_lo, s0
; %bb.987:
	s_delay_alu instid0(VALU_DEP_2) | instskip(SKIP_3) | instid1(VALU_DEP_2)
	v_cmp_lt_u32_e32 vcc_lo, 0xffffff, v1
	v_sub_nc_u32_e32 v0, v2, v7
	s_wait_alu 0xfffd
	v_cndmask_b32_e64 v2, 0, 1, vcc_lo
	v_add_co_ci_u32_e64 v0, null, 0, v0, vcc_lo
	s_delay_alu instid0(VALU_DEP_2)
	v_lshrrev_b32_e32 v1, v2, v1
; %bb.988:
	s_wait_alu 0xfffe
	s_and_not1_saveexec_b32 s0, s0
; %bb.989:
	s_delay_alu instid0(VALU_DEP_1)
	v_bfe_u32 v0, v1, 23, 1
; %bb.990:
	s_wait_alu 0xfffe
	s_or_b32 exec_lo, exec_lo, s0
	v_lshrrev_b32_e32 v1, 20, v1
	s_delay_alu instid0(VALU_DEP_2) | instskip(SKIP_3) | instid1(VALU_DEP_2)
	v_cmp_gt_i32_e32 vcc_lo, 16, v0
	v_lshrrev_b32_e32 v2, 24, v3
	v_min_i32_e32 v3, 15, v0
	s_wait_alu 0xfffd
	v_dual_cndmask_b32 v1, 7, v1 :: v_dual_and_b32 v2, 0x80, v2
	s_delay_alu instid0(VALU_DEP_2) | instskip(NEXT) | instid1(VALU_DEP_2)
	v_lshlrev_b32_e32 v3, 3, v3
	v_and_b32_e32 v7, 7, v1
	v_or_b32_e32 v0, v0, v1
	s_delay_alu instid0(VALU_DEP_2) | instskip(NEXT) | instid1(VALU_DEP_2)
	v_or3_b32 v2, v2, v3, v7
	v_cmp_ne_u32_e32 vcc_lo, 0, v0
	s_delay_alu instid0(VALU_DEP_2) | instskip(SKIP_1) | instid1(VALU_DEP_1)
	v_lshlrev_b32_e32 v1, 24, v2
	s_wait_alu 0xfffd
	v_cndmask_b32_e32 v7, 0, v1, vcc_lo
.LBB4_991:
	s_wait_alu 0xfffe
	s_or_b32 exec_lo, exec_lo, s6
.LBB4_992:
	s_wait_alu 0xfffe
	s_or_b32 exec_lo, exec_lo, s3
	ds_load_b128 v[0:3], v92 offset:16
	v_or_b32_e32 v5, v5, v4
	v_add_nc_u32_e32 v4, s2, v36
	s_mov_b32 s6, s1
	s_mov_b32 s2, exec_lo
	s_delay_alu instid0(VALU_DEP_2) | instskip(SKIP_4) | instid1(VALU_DEP_1)
	v_or3_b32 v6, v6, v5, v7
	v_mov_b32_e32 v5, 0x80
	buffer_store_b32 v6, v4, s[4:7], null offen
	s_wait_dscnt 0x0
	v_and_b32_e32 v8, 0x7f800000, v0
	v_cmpx_ne_u32_e32 0x7f800000, v8
	s_cbranch_execz .LBB4_1000
; %bb.993:
	v_mov_b32_e32 v5, 0
	s_mov_b32 s3, exec_lo
	v_cmpx_ne_u32_e32 0, v0
	s_cbranch_execz .LBB4_999
; %bb.994:
	v_bfe_u32 v5, v0, 23, 8
	s_delay_alu instid0(VALU_DEP_1) | instskip(SKIP_2) | instid1(VALU_DEP_2)
	v_sub_nc_u32_e32 v7, 0x78, v5
	v_cmp_gt_u32_e32 vcc_lo, 0x79, v5
	s_wait_alu 0xfffd
	v_dual_cndmask_b32 v7, 0, v7 :: v_dual_and_b32 v6, 0x7fffff, v0
	s_delay_alu instid0(VALU_DEP_1) | instskip(SKIP_2) | instid1(VALU_DEP_2)
	v_or_b32_e32 v8, 0x800000, v6
	v_cmp_eq_u32_e32 vcc_lo, 0, v5
	s_wait_alu 0xfffd
	v_dual_cndmask_b32 v6, v8, v6 :: v_dual_add_nc_u32 v5, 0xffffff89, v5
	v_cndmask_b32_e64 v7, v7, 0x77, vcc_lo
	s_delay_alu instid0(VALU_DEP_2) | instskip(NEXT) | instid1(VALU_DEP_2)
	v_cndmask_b32_e64 v5, v5, 0xffffff8a, vcc_lo
	v_lshrrev_b32_e32 v9, v7, v6
	v_lshl_add_u32 v8, 0x100000, v7, -1
	v_lshlrev_b32_e64 v11, v7, 0x80000
	s_delay_alu instid0(VALU_DEP_4) | instskip(NEXT) | instid1(VALU_DEP_4)
	v_add_nc_u32_e32 v7, v7, v5
	v_bfe_u32 v10, v9, 20, 1
	s_delay_alu instid0(VALU_DEP_4) | instskip(NEXT) | instid1(VALU_DEP_2)
	v_and_b32_e32 v6, v8, v6
	v_add_nc_u32_e32 v8, -1, v10
	s_delay_alu instid0(VALU_DEP_2) | instskip(SKIP_1) | instid1(VALU_DEP_1)
	v_cmp_eq_u32_e64 s0, v6, v11
	s_wait_alu 0xf1ff
	v_cndmask_b32_e64 v6, 0, v8, s0
	v_lshrrev_b32_e32 v8, 23, v9
	s_mov_b32 s0, exec_lo
	s_delay_alu instid0(VALU_DEP_2) | instskip(NEXT) | instid1(VALU_DEP_2)
	v_add_nc_u32_e32 v6, v6, v9
	v_xor_b32_e32 v8, 1, v8
	s_delay_alu instid0(VALU_DEP_2) | instskip(NEXT) | instid1(VALU_DEP_1)
	v_and_b32_e32 v5, 0xfffff, v6
	v_add_nc_u32_e32 v6, v5, v9
                                        ; implicit-def: $vgpr5
	s_delay_alu instid0(VALU_DEP_3)
	v_cmpx_ne_u32_e64 v7, v8
	s_wait_alu 0xfffe
	s_xor_b32 s0, exec_lo, s0
; %bb.995:
	s_delay_alu instid0(VALU_DEP_2) | instskip(SKIP_3) | instid1(VALU_DEP_2)
	v_cmp_lt_u32_e32 vcc_lo, 0xffffff, v6
	v_sub_nc_u32_e32 v5, v7, v8
	s_wait_alu 0xfffd
	v_cndmask_b32_e64 v7, 0, 1, vcc_lo
	v_add_co_ci_u32_e64 v5, null, 0, v5, vcc_lo
	s_delay_alu instid0(VALU_DEP_2)
	v_lshrrev_b32_e32 v6, v7, v6
; %bb.996:
	s_wait_alu 0xfffe
	s_and_not1_saveexec_b32 s0, s0
; %bb.997:
	s_delay_alu instid0(VALU_DEP_1)
	v_bfe_u32 v5, v6, 23, 1
; %bb.998:
	s_wait_alu 0xfffe
	s_or_b32 exec_lo, exec_lo, s0
	v_lshrrev_b32_e32 v6, 20, v6
	s_delay_alu instid0(VALU_DEP_2) | instskip(SKIP_3) | instid1(VALU_DEP_2)
	v_cmp_gt_i32_e32 vcc_lo, 16, v5
	v_min_i32_e32 v7, 15, v5
	v_lshrrev_b32_e32 v0, 24, v0
	s_wait_alu 0xfffd
	v_dual_cndmask_b32 v6, 7, v6 :: v_dual_lshlrev_b32 v7, 3, v7
	s_delay_alu instid0(VALU_DEP_2) | instskip(NEXT) | instid1(VALU_DEP_2)
	v_and_b32_e32 v0, 0x80, v0
	v_or_b32_e32 v5, v5, v6
	s_delay_alu instid0(VALU_DEP_3) | instskip(NEXT) | instid1(VALU_DEP_2)
	v_and_b32_e32 v7, 0xf8, v7
	v_cmp_ne_u32_e32 vcc_lo, 0, v5
	v_and_b32_e32 v8, 7, v6
	s_delay_alu instid0(VALU_DEP_1) | instskip(SKIP_1) | instid1(VALU_DEP_1)
	v_or3_b32 v0, v7, v0, v8
	s_wait_alu 0xfffd
	v_cndmask_b32_e32 v5, 0, v0, vcc_lo
.LBB4_999:
	s_wait_alu 0xfffe
	s_or_b32 exec_lo, exec_lo, s3
.LBB4_1000:
	s_delay_alu instid0(SALU_CYCLE_1) | instskip(SKIP_1) | instid1(VALU_DEP_1)
	s_or_b32 exec_lo, exec_lo, s2
	v_and_b32_e32 v0, 0x7f800000, v1
	v_cmp_ne_u32_e32 vcc_lo, 0x7f800000, v0
	v_mov_b32_e32 v0, 0x8000
	s_and_saveexec_b32 s2, vcc_lo
	s_cbranch_execz .LBB4_1008
; %bb.1001:
	v_mov_b32_e32 v0, 0
	s_mov_b32 s3, exec_lo
	v_cmpx_ne_u32_e32 0, v1
	s_cbranch_execz .LBB4_1007
; %bb.1002:
	v_bfe_u32 v0, v1, 23, 8
	s_delay_alu instid0(VALU_DEP_1) | instskip(SKIP_2) | instid1(VALU_DEP_2)
	v_sub_nc_u32_e32 v7, 0x78, v0
	v_cmp_gt_u32_e32 vcc_lo, 0x79, v0
	s_wait_alu 0xfffd
	v_dual_cndmask_b32 v7, 0, v7 :: v_dual_and_b32 v6, 0x7fffff, v1
	s_delay_alu instid0(VALU_DEP_1) | instskip(SKIP_4) | instid1(VALU_DEP_2)
	v_or_b32_e32 v8, 0x800000, v6
	v_cmp_eq_u32_e32 vcc_lo, 0, v0
	v_add_nc_u32_e32 v0, 0xffffff89, v0
	s_wait_alu 0xfffd
	v_cndmask_b32_e64 v7, v7, 0x77, vcc_lo
	v_cndmask_b32_e64 v0, v0, 0xffffff8a, vcc_lo
	v_cndmask_b32_e32 v6, v8, v6, vcc_lo
	s_delay_alu instid0(VALU_DEP_3) | instskip(SKIP_1) | instid1(VALU_DEP_3)
	v_lshl_add_u32 v8, 0x100000, v7, -1
	v_lshlrev_b32_e64 v11, v7, 0x80000
	v_lshrrev_b32_e32 v9, v7, v6
	v_add_nc_u32_e32 v7, v7, v0
	s_delay_alu instid0(VALU_DEP_4) | instskip(NEXT) | instid1(VALU_DEP_3)
	v_and_b32_e32 v6, v8, v6
	v_bfe_u32 v10, v9, 20, 1
	s_delay_alu instid0(VALU_DEP_2) | instskip(NEXT) | instid1(VALU_DEP_2)
	v_cmp_eq_u32_e64 s0, v6, v11
	v_add_nc_u32_e32 v8, -1, v10
	s_wait_alu 0xf1ff
	s_delay_alu instid0(VALU_DEP_1) | instskip(SKIP_2) | instid1(VALU_DEP_2)
	v_cndmask_b32_e64 v6, 0, v8, s0
	v_lshrrev_b32_e32 v8, 23, v9
	s_mov_b32 s0, exec_lo
	v_add_nc_u32_e32 v6, v6, v9
	s_delay_alu instid0(VALU_DEP_2) | instskip(NEXT) | instid1(VALU_DEP_2)
	v_xor_b32_e32 v8, 1, v8
	v_and_b32_e32 v0, 0xfffff, v6
	s_delay_alu instid0(VALU_DEP_1) | instskip(NEXT) | instid1(VALU_DEP_3)
	v_add_nc_u32_e32 v6, v0, v9
                                        ; implicit-def: $vgpr0
	v_cmpx_ne_u32_e64 v7, v8
	s_wait_alu 0xfffe
	s_xor_b32 s0, exec_lo, s0
; %bb.1003:
	s_delay_alu instid0(VALU_DEP_2) | instskip(SKIP_3) | instid1(VALU_DEP_2)
	v_cmp_lt_u32_e32 vcc_lo, 0xffffff, v6
	v_sub_nc_u32_e32 v0, v7, v8
	s_wait_alu 0xfffd
	v_cndmask_b32_e64 v7, 0, 1, vcc_lo
	v_add_co_ci_u32_e64 v0, null, 0, v0, vcc_lo
	s_delay_alu instid0(VALU_DEP_2)
	v_lshrrev_b32_e32 v6, v7, v6
; %bb.1004:
	s_wait_alu 0xfffe
	s_and_not1_saveexec_b32 s0, s0
; %bb.1005:
	s_delay_alu instid0(VALU_DEP_1)
	v_bfe_u32 v0, v6, 23, 1
; %bb.1006:
	s_wait_alu 0xfffe
	s_or_b32 exec_lo, exec_lo, s0
	v_lshrrev_b32_e32 v6, 20, v6
	s_delay_alu instid0(VALU_DEP_2) | instskip(SKIP_3) | instid1(VALU_DEP_2)
	v_cmp_gt_i32_e32 vcc_lo, 16, v0
	v_min_i32_e32 v7, 15, v0
	v_lshrrev_b32_e32 v1, 24, v1
	s_wait_alu 0xfffd
	v_dual_cndmask_b32 v6, 7, v6 :: v_dual_lshlrev_b32 v7, 3, v7
	s_delay_alu instid0(VALU_DEP_2) | instskip(NEXT) | instid1(VALU_DEP_2)
	v_and_b32_e32 v1, 0x80, v1
	v_or_b32_e32 v0, v0, v6
	v_and_b32_e32 v8, 7, v6
	s_delay_alu instid0(VALU_DEP_2) | instskip(SKIP_1) | instid1(VALU_DEP_1)
	v_cmp_ne_u32_e32 vcc_lo, 0, v0
	v_and_b32_e32 v7, 0xf8, v7
	v_or3_b32 v1, v1, v7, v8
	s_delay_alu instid0(VALU_DEP_1) | instskip(SKIP_1) | instid1(VALU_DEP_1)
	v_lshlrev_b32_e32 v1, 8, v1
	s_wait_alu 0xfffd
	v_cndmask_b32_e32 v0, 0, v1, vcc_lo
.LBB4_1007:
	s_wait_alu 0xfffe
	s_or_b32 exec_lo, exec_lo, s3
.LBB4_1008:
	s_wait_alu 0xfffe
	s_or_b32 exec_lo, exec_lo, s2
	v_and_b32_e32 v1, 0x7f800000, v2
	s_delay_alu instid0(VALU_DEP_1)
	v_cmp_ne_u32_e32 vcc_lo, 0x7f800000, v1
	v_mov_b32_e32 v1, 0x800000
	s_and_saveexec_b32 s2, vcc_lo
	s_cbranch_execz .LBB4_1016
; %bb.1009:
	v_mov_b32_e32 v1, 0
	s_mov_b32 s3, exec_lo
	v_cmpx_ne_u32_e32 0, v2
	s_cbranch_execz .LBB4_1015
; %bb.1010:
	v_bfe_u32 v1, v2, 23, 8
	s_delay_alu instid0(VALU_DEP_1) | instskip(SKIP_2) | instid1(VALU_DEP_2)
	v_sub_nc_u32_e32 v7, 0x78, v1
	v_cmp_gt_u32_e32 vcc_lo, 0x79, v1
	s_wait_alu 0xfffd
	v_dual_cndmask_b32 v7, 0, v7 :: v_dual_and_b32 v6, 0x7fffff, v2
	s_delay_alu instid0(VALU_DEP_1) | instskip(SKIP_2) | instid1(VALU_DEP_2)
	v_or_b32_e32 v8, 0x800000, v6
	v_cmp_eq_u32_e32 vcc_lo, 0, v1
	s_wait_alu 0xfffd
	v_dual_cndmask_b32 v6, v8, v6 :: v_dual_add_nc_u32 v1, 0xffffff89, v1
	v_cndmask_b32_e64 v7, v7, 0x77, vcc_lo
	s_delay_alu instid0(VALU_DEP_2) | instskip(NEXT) | instid1(VALU_DEP_2)
	v_cndmask_b32_e64 v1, v1, 0xffffff8a, vcc_lo
	v_lshrrev_b32_e32 v9, v7, v6
	v_lshl_add_u32 v8, 0x100000, v7, -1
	v_lshlrev_b32_e64 v11, v7, 0x80000
	s_delay_alu instid0(VALU_DEP_4) | instskip(NEXT) | instid1(VALU_DEP_4)
	v_add_nc_u32_e32 v7, v7, v1
	v_bfe_u32 v10, v9, 20, 1
	s_delay_alu instid0(VALU_DEP_4) | instskip(NEXT) | instid1(VALU_DEP_2)
	v_and_b32_e32 v6, v8, v6
	v_add_nc_u32_e32 v8, -1, v10
	s_delay_alu instid0(VALU_DEP_2) | instskip(SKIP_1) | instid1(VALU_DEP_1)
	v_cmp_eq_u32_e64 s0, v6, v11
	s_wait_alu 0xf1ff
	v_cndmask_b32_e64 v6, 0, v8, s0
	v_lshrrev_b32_e32 v8, 23, v9
	s_mov_b32 s0, exec_lo
	s_delay_alu instid0(VALU_DEP_2) | instskip(NEXT) | instid1(VALU_DEP_2)
	v_add_nc_u32_e32 v6, v6, v9
	v_xor_b32_e32 v8, 1, v8
	s_delay_alu instid0(VALU_DEP_2) | instskip(NEXT) | instid1(VALU_DEP_1)
	v_and_b32_e32 v1, 0xfffff, v6
	v_add_nc_u32_e32 v6, v1, v9
                                        ; implicit-def: $vgpr1
	s_delay_alu instid0(VALU_DEP_3)
	v_cmpx_ne_u32_e64 v7, v8
	s_wait_alu 0xfffe
	s_xor_b32 s0, exec_lo, s0
; %bb.1011:
	s_delay_alu instid0(VALU_DEP_2) | instskip(SKIP_3) | instid1(VALU_DEP_2)
	v_cmp_lt_u32_e32 vcc_lo, 0xffffff, v6
	v_sub_nc_u32_e32 v1, v7, v8
	s_wait_alu 0xfffd
	v_cndmask_b32_e64 v7, 0, 1, vcc_lo
	v_add_co_ci_u32_e64 v1, null, 0, v1, vcc_lo
	s_delay_alu instid0(VALU_DEP_2)
	v_lshrrev_b32_e32 v6, v7, v6
; %bb.1012:
	s_wait_alu 0xfffe
	s_and_not1_saveexec_b32 s0, s0
; %bb.1013:
	s_delay_alu instid0(VALU_DEP_1)
	v_bfe_u32 v1, v6, 23, 1
; %bb.1014:
	s_wait_alu 0xfffe
	s_or_b32 exec_lo, exec_lo, s0
	v_lshrrev_b32_e32 v6, 20, v6
	s_delay_alu instid0(VALU_DEP_2) | instskip(SKIP_3) | instid1(VALU_DEP_3)
	v_min_i32_e32 v7, 15, v1
	v_cmp_gt_i32_e32 vcc_lo, 16, v1
	v_lshrrev_b32_e32 v2, 24, v2
	s_wait_alu 0xfffd
	v_dual_cndmask_b32 v6, 7, v6 :: v_dual_lshlrev_b32 v7, 3, v7
	s_delay_alu instid0(VALU_DEP_2) | instskip(NEXT) | instid1(VALU_DEP_2)
	v_and_b32_e32 v2, 0x80, v2
	v_and_b32_e32 v7, 0xf8, v7
	s_delay_alu instid0(VALU_DEP_3) | instskip(SKIP_1) | instid1(VALU_DEP_2)
	v_and_b32_e32 v8, 7, v6
	v_or_b32_e32 v1, v1, v6
	v_or3_b32 v2, v2, v7, v8
	s_delay_alu instid0(VALU_DEP_2) | instskip(NEXT) | instid1(VALU_DEP_2)
	v_cmp_ne_u32_e32 vcc_lo, 0, v1
	v_lshlrev_b32_e32 v2, 16, v2
	s_wait_alu 0xfffd
	s_delay_alu instid0(VALU_DEP_1)
	v_cndmask_b32_e32 v1, 0, v2, vcc_lo
.LBB4_1015:
	s_wait_alu 0xfffe
	s_or_b32 exec_lo, exec_lo, s3
.LBB4_1016:
	s_wait_alu 0xfffe
	s_or_b32 exec_lo, exec_lo, s2
	v_and_b32_e32 v2, 0x7f800000, v3
	s_delay_alu instid0(VALU_DEP_1)
	v_cmp_ne_u32_e32 vcc_lo, 0x7f800000, v2
	v_bfrev_b32_e32 v2, 1
	s_and_saveexec_b32 s2, vcc_lo
	s_cbranch_execz .LBB4_1024
; %bb.1017:
	v_mov_b32_e32 v2, 0
	s_mov_b32 s3, exec_lo
	v_cmpx_ne_u32_e32 0, v3
	s_cbranch_execz .LBB4_1023
; %bb.1018:
	v_bfe_u32 v2, v3, 23, 8
	v_and_b32_e32 v6, 0x7fffff, v3
	s_delay_alu instid0(VALU_DEP_2) | instskip(SKIP_1) | instid1(VALU_DEP_3)
	v_sub_nc_u32_e32 v7, 0x78, v2
	v_cmp_gt_u32_e32 vcc_lo, 0x79, v2
	v_or_b32_e32 v8, 0x800000, v6
	s_wait_alu 0xfffd
	s_delay_alu instid0(VALU_DEP_3)
	v_cndmask_b32_e32 v7, 0, v7, vcc_lo
	v_cmp_eq_u32_e32 vcc_lo, 0, v2
	v_add_nc_u32_e32 v2, 0xffffff89, v2
	s_wait_alu 0xfffd
	v_cndmask_b32_e32 v6, v8, v6, vcc_lo
	v_cndmask_b32_e64 v7, v7, 0x77, vcc_lo
	s_delay_alu instid0(VALU_DEP_3) | instskip(NEXT) | instid1(VALU_DEP_2)
	v_cndmask_b32_e64 v2, v2, 0xffffff8a, vcc_lo
	v_lshrrev_b32_e32 v9, v7, v6
	v_lshl_add_u32 v8, 0x100000, v7, -1
	v_lshlrev_b32_e64 v11, v7, 0x80000
	s_delay_alu instid0(VALU_DEP_4) | instskip(NEXT) | instid1(VALU_DEP_4)
	v_add_nc_u32_e32 v7, v7, v2
	v_bfe_u32 v10, v9, 20, 1
	s_delay_alu instid0(VALU_DEP_4) | instskip(NEXT) | instid1(VALU_DEP_2)
	v_and_b32_e32 v6, v8, v6
	v_add_nc_u32_e32 v8, -1, v10
	s_delay_alu instid0(VALU_DEP_2) | instskip(SKIP_1) | instid1(VALU_DEP_1)
	v_cmp_eq_u32_e64 s0, v6, v11
	s_wait_alu 0xf1ff
	v_cndmask_b32_e64 v6, 0, v8, s0
	v_lshrrev_b32_e32 v8, 23, v9
	s_mov_b32 s0, exec_lo
	s_delay_alu instid0(VALU_DEP_2) | instskip(NEXT) | instid1(VALU_DEP_2)
	v_add_nc_u32_e32 v6, v6, v9
	v_xor_b32_e32 v8, 1, v8
	s_delay_alu instid0(VALU_DEP_2) | instskip(NEXT) | instid1(VALU_DEP_1)
	v_and_b32_e32 v2, 0xfffff, v6
	v_add_nc_u32_e32 v6, v2, v9
                                        ; implicit-def: $vgpr2
	s_delay_alu instid0(VALU_DEP_3)
	v_cmpx_ne_u32_e64 v7, v8
	s_wait_alu 0xfffe
	s_xor_b32 s0, exec_lo, s0
; %bb.1019:
	s_delay_alu instid0(VALU_DEP_2) | instskip(SKIP_3) | instid1(VALU_DEP_2)
	v_cmp_lt_u32_e32 vcc_lo, 0xffffff, v6
	v_sub_nc_u32_e32 v2, v7, v8
	s_wait_alu 0xfffd
	v_cndmask_b32_e64 v7, 0, 1, vcc_lo
	v_add_co_ci_u32_e64 v2, null, 0, v2, vcc_lo
	s_delay_alu instid0(VALU_DEP_2)
	v_lshrrev_b32_e32 v6, v7, v6
; %bb.1020:
	s_wait_alu 0xfffe
	s_and_not1_saveexec_b32 s0, s0
; %bb.1021:
	s_delay_alu instid0(VALU_DEP_1)
	v_bfe_u32 v2, v6, 23, 1
; %bb.1022:
	s_wait_alu 0xfffe
	s_or_b32 exec_lo, exec_lo, s0
	v_lshrrev_b32_e32 v6, 20, v6
	s_delay_alu instid0(VALU_DEP_2) | instskip(SKIP_3) | instid1(VALU_DEP_2)
	v_cmp_gt_i32_e32 vcc_lo, 16, v2
	v_lshrrev_b32_e32 v3, 24, v3
	v_min_i32_e32 v7, 15, v2
	s_wait_alu 0xfffd
	v_dual_cndmask_b32 v6, 7, v6 :: v_dual_and_b32 v3, 0x80, v3
	s_delay_alu instid0(VALU_DEP_2) | instskip(NEXT) | instid1(VALU_DEP_2)
	v_lshlrev_b32_e32 v7, 3, v7
	v_and_b32_e32 v8, 7, v6
	v_or_b32_e32 v2, v2, v6
	s_delay_alu instid0(VALU_DEP_2) | instskip(NEXT) | instid1(VALU_DEP_2)
	v_or3_b32 v3, v3, v7, v8
	v_cmp_ne_u32_e32 vcc_lo, 0, v2
	s_delay_alu instid0(VALU_DEP_2) | instskip(SKIP_1) | instid1(VALU_DEP_1)
	v_lshlrev_b32_e32 v3, 24, v3
	s_wait_alu 0xfffd
	v_cndmask_b32_e32 v2, 0, v3, vcc_lo
.LBB4_1023:
	s_wait_alu 0xfffe
	s_or_b32 exec_lo, exec_lo, s3
.LBB4_1024:
	s_wait_alu 0xfffe
	s_or_b32 exec_lo, exec_lo, s2
	v_or_b32_e32 v0, v0, v5
	s_mov_b32 s6, s1
	s_delay_alu instid0(VALU_DEP_1)
	v_or3_b32 v0, v1, v0, v2
	buffer_store_b32 v0, v4, s[4:7], null offen offset:4
	s_nop 0
	s_sendmsg sendmsg(MSG_DEALLOC_VGPRS)
	s_endpgm
	.section	.rodata,"a",@progbits
	.p2align	6, 0x0
	.amdhsa_kernel _ZN2ck27kernel_gemm_xdl_cshuffle_v1INS_43GridwiseGemm_k0mk1_k0nk1_mn_xdl_cshuffle_v1INS_13tensor_layout4gemm8RowMajorENS3_11ColumnMajorES4_NS_9f8_fnuz_tES6_ffS6_NS_16tensor_operation12element_wise11PassThroughES9_S9_LNS7_6device18GemmSpecializationE0ELNS_25InMemoryDataOperationEnumE0ELi1ELi256ELi256ELi128ELi64ELi16ELi16ELi16ELi16ELi8ELi2ENS_8SequenceIJLi4ELi64ELi1EEEENSD_IJLi1ELi0ELi2EEEESF_Li2ELi16ELi16ELb0ELi1ESE_SF_SF_Li2ELi8ELi8ELb0ELi1ELi1ELi1ENSD_IJLi1ELi32ELi1ELi8EEEELi4ELNS_13LoopSchedulerE0ELNS_15PipelineVersionE0ES6_S6_EELb0EEEvNT_8ArgumentE
		.amdhsa_group_segment_fixed_size 24672
		.amdhsa_private_segment_fixed_size 0
		.amdhsa_kernarg_size 96
		.amdhsa_user_sgpr_count 2
		.amdhsa_user_sgpr_dispatch_ptr 0
		.amdhsa_user_sgpr_queue_ptr 0
		.amdhsa_user_sgpr_kernarg_segment_ptr 1
		.amdhsa_user_sgpr_dispatch_id 0
		.amdhsa_user_sgpr_private_segment_size 0
		.amdhsa_wavefront_size32 1
		.amdhsa_uses_dynamic_stack 0
		.amdhsa_enable_private_segment 0
		.amdhsa_system_sgpr_workgroup_id_x 1
		.amdhsa_system_sgpr_workgroup_id_y 0
		.amdhsa_system_sgpr_workgroup_id_z 0
		.amdhsa_system_sgpr_workgroup_info 0
		.amdhsa_system_vgpr_workitem_id 0
		.amdhsa_next_free_vgpr 121
		.amdhsa_next_free_sgpr 26
		.amdhsa_reserve_vcc 1
		.amdhsa_float_round_mode_32 0
		.amdhsa_float_round_mode_16_64 0
		.amdhsa_float_denorm_mode_32 3
		.amdhsa_float_denorm_mode_16_64 3
		.amdhsa_fp16_overflow 0
		.amdhsa_workgroup_processor_mode 1
		.amdhsa_memory_ordered 1
		.amdhsa_forward_progress 1
		.amdhsa_inst_pref_size 255
		.amdhsa_round_robin_scheduling 0
		.amdhsa_exception_fp_ieee_invalid_op 0
		.amdhsa_exception_fp_denorm_src 0
		.amdhsa_exception_fp_ieee_div_zero 0
		.amdhsa_exception_fp_ieee_overflow 0
		.amdhsa_exception_fp_ieee_underflow 0
		.amdhsa_exception_fp_ieee_inexact 0
		.amdhsa_exception_int_div_zero 0
	.end_amdhsa_kernel
	.section	.text._ZN2ck27kernel_gemm_xdl_cshuffle_v1INS_43GridwiseGemm_k0mk1_k0nk1_mn_xdl_cshuffle_v1INS_13tensor_layout4gemm8RowMajorENS3_11ColumnMajorES4_NS_9f8_fnuz_tES6_ffS6_NS_16tensor_operation12element_wise11PassThroughES9_S9_LNS7_6device18GemmSpecializationE0ELNS_25InMemoryDataOperationEnumE0ELi1ELi256ELi256ELi128ELi64ELi16ELi16ELi16ELi16ELi8ELi2ENS_8SequenceIJLi4ELi64ELi1EEEENSD_IJLi1ELi0ELi2EEEESF_Li2ELi16ELi16ELb0ELi1ESE_SF_SF_Li2ELi8ELi8ELb0ELi1ELi1ELi1ENSD_IJLi1ELi32ELi1ELi8EEEELi4ELNS_13LoopSchedulerE0ELNS_15PipelineVersionE0ES6_S6_EELb0EEEvNT_8ArgumentE,"axG",@progbits,_ZN2ck27kernel_gemm_xdl_cshuffle_v1INS_43GridwiseGemm_k0mk1_k0nk1_mn_xdl_cshuffle_v1INS_13tensor_layout4gemm8RowMajorENS3_11ColumnMajorES4_NS_9f8_fnuz_tES6_ffS6_NS_16tensor_operation12element_wise11PassThroughES9_S9_LNS7_6device18GemmSpecializationE0ELNS_25InMemoryDataOperationEnumE0ELi1ELi256ELi256ELi128ELi64ELi16ELi16ELi16ELi16ELi8ELi2ENS_8SequenceIJLi4ELi64ELi1EEEENSD_IJLi1ELi0ELi2EEEESF_Li2ELi16ELi16ELb0ELi1ESE_SF_SF_Li2ELi8ELi8ELb0ELi1ELi1ELi1ENSD_IJLi1ELi32ELi1ELi8EEEELi4ELNS_13LoopSchedulerE0ELNS_15PipelineVersionE0ES6_S6_EELb0EEEvNT_8ArgumentE,comdat
.Lfunc_end4:
	.size	_ZN2ck27kernel_gemm_xdl_cshuffle_v1INS_43GridwiseGemm_k0mk1_k0nk1_mn_xdl_cshuffle_v1INS_13tensor_layout4gemm8RowMajorENS3_11ColumnMajorES4_NS_9f8_fnuz_tES6_ffS6_NS_16tensor_operation12element_wise11PassThroughES9_S9_LNS7_6device18GemmSpecializationE0ELNS_25InMemoryDataOperationEnumE0ELi1ELi256ELi256ELi128ELi64ELi16ELi16ELi16ELi16ELi8ELi2ENS_8SequenceIJLi4ELi64ELi1EEEENSD_IJLi1ELi0ELi2EEEESF_Li2ELi16ELi16ELb0ELi1ESE_SF_SF_Li2ELi8ELi8ELb0ELi1ELi1ELi1ENSD_IJLi1ELi32ELi1ELi8EEEELi4ELNS_13LoopSchedulerE0ELNS_15PipelineVersionE0ES6_S6_EELb0EEEvNT_8ArgumentE, .Lfunc_end4-_ZN2ck27kernel_gemm_xdl_cshuffle_v1INS_43GridwiseGemm_k0mk1_k0nk1_mn_xdl_cshuffle_v1INS_13tensor_layout4gemm8RowMajorENS3_11ColumnMajorES4_NS_9f8_fnuz_tES6_ffS6_NS_16tensor_operation12element_wise11PassThroughES9_S9_LNS7_6device18GemmSpecializationE0ELNS_25InMemoryDataOperationEnumE0ELi1ELi256ELi256ELi128ELi64ELi16ELi16ELi16ELi16ELi8ELi2ENS_8SequenceIJLi4ELi64ELi1EEEENSD_IJLi1ELi0ELi2EEEESF_Li2ELi16ELi16ELb0ELi1ESE_SF_SF_Li2ELi8ELi8ELb0ELi1ELi1ELi1ENSD_IJLi1ELi32ELi1ELi8EEEELi4ELNS_13LoopSchedulerE0ELNS_15PipelineVersionE0ES6_S6_EELb0EEEvNT_8ArgumentE
                                        ; -- End function
	.set _ZN2ck27kernel_gemm_xdl_cshuffle_v1INS_43GridwiseGemm_k0mk1_k0nk1_mn_xdl_cshuffle_v1INS_13tensor_layout4gemm8RowMajorENS3_11ColumnMajorES4_NS_9f8_fnuz_tES6_ffS6_NS_16tensor_operation12element_wise11PassThroughES9_S9_LNS7_6device18GemmSpecializationE0ELNS_25InMemoryDataOperationEnumE0ELi1ELi256ELi256ELi128ELi64ELi16ELi16ELi16ELi16ELi8ELi2ENS_8SequenceIJLi4ELi64ELi1EEEENSD_IJLi1ELi0ELi2EEEESF_Li2ELi16ELi16ELb0ELi1ESE_SF_SF_Li2ELi8ELi8ELb0ELi1ELi1ELi1ENSD_IJLi1ELi32ELi1ELi8EEEELi4ELNS_13LoopSchedulerE0ELNS_15PipelineVersionE0ES6_S6_EELb0EEEvNT_8ArgumentE.num_vgpr, 100
	.set _ZN2ck27kernel_gemm_xdl_cshuffle_v1INS_43GridwiseGemm_k0mk1_k0nk1_mn_xdl_cshuffle_v1INS_13tensor_layout4gemm8RowMajorENS3_11ColumnMajorES4_NS_9f8_fnuz_tES6_ffS6_NS_16tensor_operation12element_wise11PassThroughES9_S9_LNS7_6device18GemmSpecializationE0ELNS_25InMemoryDataOperationEnumE0ELi1ELi256ELi256ELi128ELi64ELi16ELi16ELi16ELi16ELi8ELi2ENS_8SequenceIJLi4ELi64ELi1EEEENSD_IJLi1ELi0ELi2EEEESF_Li2ELi16ELi16ELb0ELi1ESE_SF_SF_Li2ELi8ELi8ELb0ELi1ELi1ELi1ENSD_IJLi1ELi32ELi1ELi8EEEELi4ELNS_13LoopSchedulerE0ELNS_15PipelineVersionE0ES6_S6_EELb0EEEvNT_8ArgumentE.num_agpr, 0
	.set _ZN2ck27kernel_gemm_xdl_cshuffle_v1INS_43GridwiseGemm_k0mk1_k0nk1_mn_xdl_cshuffle_v1INS_13tensor_layout4gemm8RowMajorENS3_11ColumnMajorES4_NS_9f8_fnuz_tES6_ffS6_NS_16tensor_operation12element_wise11PassThroughES9_S9_LNS7_6device18GemmSpecializationE0ELNS_25InMemoryDataOperationEnumE0ELi1ELi256ELi256ELi128ELi64ELi16ELi16ELi16ELi16ELi8ELi2ENS_8SequenceIJLi4ELi64ELi1EEEENSD_IJLi1ELi0ELi2EEEESF_Li2ELi16ELi16ELb0ELi1ESE_SF_SF_Li2ELi8ELi8ELb0ELi1ELi1ELi1ENSD_IJLi1ELi32ELi1ELi8EEEELi4ELNS_13LoopSchedulerE0ELNS_15PipelineVersionE0ES6_S6_EELb0EEEvNT_8ArgumentE.numbered_sgpr, 26
	.set _ZN2ck27kernel_gemm_xdl_cshuffle_v1INS_43GridwiseGemm_k0mk1_k0nk1_mn_xdl_cshuffle_v1INS_13tensor_layout4gemm8RowMajorENS3_11ColumnMajorES4_NS_9f8_fnuz_tES6_ffS6_NS_16tensor_operation12element_wise11PassThroughES9_S9_LNS7_6device18GemmSpecializationE0ELNS_25InMemoryDataOperationEnumE0ELi1ELi256ELi256ELi128ELi64ELi16ELi16ELi16ELi16ELi8ELi2ENS_8SequenceIJLi4ELi64ELi1EEEENSD_IJLi1ELi0ELi2EEEESF_Li2ELi16ELi16ELb0ELi1ESE_SF_SF_Li2ELi8ELi8ELb0ELi1ELi1ELi1ENSD_IJLi1ELi32ELi1ELi8EEEELi4ELNS_13LoopSchedulerE0ELNS_15PipelineVersionE0ES6_S6_EELb0EEEvNT_8ArgumentE.num_named_barrier, 0
	.set _ZN2ck27kernel_gemm_xdl_cshuffle_v1INS_43GridwiseGemm_k0mk1_k0nk1_mn_xdl_cshuffle_v1INS_13tensor_layout4gemm8RowMajorENS3_11ColumnMajorES4_NS_9f8_fnuz_tES6_ffS6_NS_16tensor_operation12element_wise11PassThroughES9_S9_LNS7_6device18GemmSpecializationE0ELNS_25InMemoryDataOperationEnumE0ELi1ELi256ELi256ELi128ELi64ELi16ELi16ELi16ELi16ELi8ELi2ENS_8SequenceIJLi4ELi64ELi1EEEENSD_IJLi1ELi0ELi2EEEESF_Li2ELi16ELi16ELb0ELi1ESE_SF_SF_Li2ELi8ELi8ELb0ELi1ELi1ELi1ENSD_IJLi1ELi32ELi1ELi8EEEELi4ELNS_13LoopSchedulerE0ELNS_15PipelineVersionE0ES6_S6_EELb0EEEvNT_8ArgumentE.private_seg_size, 0
	.set _ZN2ck27kernel_gemm_xdl_cshuffle_v1INS_43GridwiseGemm_k0mk1_k0nk1_mn_xdl_cshuffle_v1INS_13tensor_layout4gemm8RowMajorENS3_11ColumnMajorES4_NS_9f8_fnuz_tES6_ffS6_NS_16tensor_operation12element_wise11PassThroughES9_S9_LNS7_6device18GemmSpecializationE0ELNS_25InMemoryDataOperationEnumE0ELi1ELi256ELi256ELi128ELi64ELi16ELi16ELi16ELi16ELi8ELi2ENS_8SequenceIJLi4ELi64ELi1EEEENSD_IJLi1ELi0ELi2EEEESF_Li2ELi16ELi16ELb0ELi1ESE_SF_SF_Li2ELi8ELi8ELb0ELi1ELi1ELi1ENSD_IJLi1ELi32ELi1ELi8EEEELi4ELNS_13LoopSchedulerE0ELNS_15PipelineVersionE0ES6_S6_EELb0EEEvNT_8ArgumentE.uses_vcc, 1
	.set _ZN2ck27kernel_gemm_xdl_cshuffle_v1INS_43GridwiseGemm_k0mk1_k0nk1_mn_xdl_cshuffle_v1INS_13tensor_layout4gemm8RowMajorENS3_11ColumnMajorES4_NS_9f8_fnuz_tES6_ffS6_NS_16tensor_operation12element_wise11PassThroughES9_S9_LNS7_6device18GemmSpecializationE0ELNS_25InMemoryDataOperationEnumE0ELi1ELi256ELi256ELi128ELi64ELi16ELi16ELi16ELi16ELi8ELi2ENS_8SequenceIJLi4ELi64ELi1EEEENSD_IJLi1ELi0ELi2EEEESF_Li2ELi16ELi16ELb0ELi1ESE_SF_SF_Li2ELi8ELi8ELb0ELi1ELi1ELi1ENSD_IJLi1ELi32ELi1ELi8EEEELi4ELNS_13LoopSchedulerE0ELNS_15PipelineVersionE0ES6_S6_EELb0EEEvNT_8ArgumentE.uses_flat_scratch, 0
	.set _ZN2ck27kernel_gemm_xdl_cshuffle_v1INS_43GridwiseGemm_k0mk1_k0nk1_mn_xdl_cshuffle_v1INS_13tensor_layout4gemm8RowMajorENS3_11ColumnMajorES4_NS_9f8_fnuz_tES6_ffS6_NS_16tensor_operation12element_wise11PassThroughES9_S9_LNS7_6device18GemmSpecializationE0ELNS_25InMemoryDataOperationEnumE0ELi1ELi256ELi256ELi128ELi64ELi16ELi16ELi16ELi16ELi8ELi2ENS_8SequenceIJLi4ELi64ELi1EEEENSD_IJLi1ELi0ELi2EEEESF_Li2ELi16ELi16ELb0ELi1ESE_SF_SF_Li2ELi8ELi8ELb0ELi1ELi1ELi1ENSD_IJLi1ELi32ELi1ELi8EEEELi4ELNS_13LoopSchedulerE0ELNS_15PipelineVersionE0ES6_S6_EELb0EEEvNT_8ArgumentE.has_dyn_sized_stack, 0
	.set _ZN2ck27kernel_gemm_xdl_cshuffle_v1INS_43GridwiseGemm_k0mk1_k0nk1_mn_xdl_cshuffle_v1INS_13tensor_layout4gemm8RowMajorENS3_11ColumnMajorES4_NS_9f8_fnuz_tES6_ffS6_NS_16tensor_operation12element_wise11PassThroughES9_S9_LNS7_6device18GemmSpecializationE0ELNS_25InMemoryDataOperationEnumE0ELi1ELi256ELi256ELi128ELi64ELi16ELi16ELi16ELi16ELi8ELi2ENS_8SequenceIJLi4ELi64ELi1EEEENSD_IJLi1ELi0ELi2EEEESF_Li2ELi16ELi16ELb0ELi1ESE_SF_SF_Li2ELi8ELi8ELb0ELi1ELi1ELi1ENSD_IJLi1ELi32ELi1ELi8EEEELi4ELNS_13LoopSchedulerE0ELNS_15PipelineVersionE0ES6_S6_EELb0EEEvNT_8ArgumentE.has_recursion, 0
	.set _ZN2ck27kernel_gemm_xdl_cshuffle_v1INS_43GridwiseGemm_k0mk1_k0nk1_mn_xdl_cshuffle_v1INS_13tensor_layout4gemm8RowMajorENS3_11ColumnMajorES4_NS_9f8_fnuz_tES6_ffS6_NS_16tensor_operation12element_wise11PassThroughES9_S9_LNS7_6device18GemmSpecializationE0ELNS_25InMemoryDataOperationEnumE0ELi1ELi256ELi256ELi128ELi64ELi16ELi16ELi16ELi16ELi8ELi2ENS_8SequenceIJLi4ELi64ELi1EEEENSD_IJLi1ELi0ELi2EEEESF_Li2ELi16ELi16ELb0ELi1ESE_SF_SF_Li2ELi8ELi8ELb0ELi1ELi1ELi1ENSD_IJLi1ELi32ELi1ELi8EEEELi4ELNS_13LoopSchedulerE0ELNS_15PipelineVersionE0ES6_S6_EELb0EEEvNT_8ArgumentE.has_indirect_call, 0
	.section	.AMDGPU.csdata,"",@progbits
; Kernel info:
; codeLenInByte = 64264
; TotalNumSgprs: 28
; NumVgprs: 100
; ScratchSize: 0
; MemoryBound: 0
; FloatMode: 240
; IeeeMode: 1
; LDSByteSize: 24672 bytes/workgroup (compile time only)
; SGPRBlocks: 0
; VGPRBlocks: 15
; NumSGPRsForWavesPerEU: 28
; NumVGPRsForWavesPerEU: 121
; Occupancy: 10
; WaveLimiterHint : 0
; COMPUTE_PGM_RSRC2:SCRATCH_EN: 0
; COMPUTE_PGM_RSRC2:USER_SGPR: 2
; COMPUTE_PGM_RSRC2:TRAP_HANDLER: 0
; COMPUTE_PGM_RSRC2:TGID_X_EN: 1
; COMPUTE_PGM_RSRC2:TGID_Y_EN: 0
; COMPUTE_PGM_RSRC2:TGID_Z_EN: 0
; COMPUTE_PGM_RSRC2:TIDIG_COMP_CNT: 0
	.section	.text._ZN2ck17naive_gemm_kernelINS_13tensor_layout4gemm8RowMajorENS2_11ColumnMajorES3_NS_9f8_fnuz_tES5_S5_fNS_16tensor_operation12element_wise11PassThroughES8_S8_ffEEvPKT2_PKT3_PT4_iiiT6_T7_T8_,"axG",@progbits,_ZN2ck17naive_gemm_kernelINS_13tensor_layout4gemm8RowMajorENS2_11ColumnMajorES3_NS_9f8_fnuz_tES5_S5_fNS_16tensor_operation12element_wise11PassThroughES8_S8_ffEEvPKT2_PKT3_PT4_iiiT6_T7_T8_,comdat
	.protected	_ZN2ck17naive_gemm_kernelINS_13tensor_layout4gemm8RowMajorENS2_11ColumnMajorES3_NS_9f8_fnuz_tES5_S5_fNS_16tensor_operation12element_wise11PassThroughES8_S8_ffEEvPKT2_PKT3_PT4_iiiT6_T7_T8_ ; -- Begin function _ZN2ck17naive_gemm_kernelINS_13tensor_layout4gemm8RowMajorENS2_11ColumnMajorES3_NS_9f8_fnuz_tES5_S5_fNS_16tensor_operation12element_wise11PassThroughES8_S8_ffEEvPKT2_PKT3_PT4_iiiT6_T7_T8_
	.globl	_ZN2ck17naive_gemm_kernelINS_13tensor_layout4gemm8RowMajorENS2_11ColumnMajorES3_NS_9f8_fnuz_tES5_S5_fNS_16tensor_operation12element_wise11PassThroughES8_S8_ffEEvPKT2_PKT3_PT4_iiiT6_T7_T8_
	.p2align	8
	.type	_ZN2ck17naive_gemm_kernelINS_13tensor_layout4gemm8RowMajorENS2_11ColumnMajorES3_NS_9f8_fnuz_tES5_S5_fNS_16tensor_operation12element_wise11PassThroughES8_S8_ffEEvPKT2_PKT3_PT4_iiiT6_T7_T8_,@function
_ZN2ck17naive_gemm_kernelINS_13tensor_layout4gemm8RowMajorENS2_11ColumnMajorES3_NS_9f8_fnuz_tES5_S5_fNS_16tensor_operation12element_wise11PassThroughES8_S8_ffEEvPKT2_PKT3_PT4_iiiT6_T7_T8_: ; @_ZN2ck17naive_gemm_kernelINS_13tensor_layout4gemm8RowMajorENS2_11ColumnMajorES3_NS_9f8_fnuz_tES5_S5_fNS_16tensor_operation12element_wise11PassThroughES8_S8_ffEEvPKT2_PKT3_PT4_iiiT6_T7_T8_
; %bb.0:
	s_clause 0x1
	s_load_b32 s2, s[0:1], 0x34
	s_load_b96 s[4:6], s[0:1], 0x18
	v_and_b32_e32 v1, 0x3ff, v0
	v_bfe_u32 v2, v0, 10, 10
	s_wait_kmcnt 0x0
	s_lshr_b32 s3, s2, 16
	s_and_b32 s2, s2, 0xffff
	s_delay_alu instid0(VALU_DEP_1) | instid1(SALU_CYCLE_1)
	v_mad_co_u64_u32 v[0:1], null, ttmp9, s2, v[1:2]
	v_mad_co_u64_u32 v[1:2], null, ttmp7, s3, v[2:3]
	s_delay_alu instid0(VALU_DEP_2) | instskip(NEXT) | instid1(VALU_DEP_2)
	v_cmp_gt_i32_e32 vcc_lo, s4, v0
	v_cmp_gt_i32_e64 s2, s5, v1
	s_and_b32 s2, vcc_lo, s2
	s_wait_alu 0xfffe
	s_and_saveexec_b32 s3, s2
	s_cbranch_execz .LBB5_30
; %bb.1:
	s_load_b64 s[8:9], s[0:1], 0x10
	s_cmp_lt_i32 s6, 1
	s_cbranch_scc1 .LBB5_20
; %bb.2:
	s_load_b128 s[0:3], s[0:1], 0x0
	v_mul_lo_u32 v2, v0, s6
	v_mul_lo_u32 v5, v1, s6
	v_mov_b32_e32 v4, 0
	s_delay_alu instid0(VALU_DEP_3) | instskip(SKIP_2) | instid1(VALU_DEP_1)
	v_ashrrev_i32_e32 v3, 31, v2
	s_wait_kmcnt 0x0
	v_add_co_u32 v2, vcc_lo, s0, v2
	v_add_co_ci_u32_e64 v3, null, s1, v3, vcc_lo
	s_branch .LBB5_4
.LBB5_3:                                ;   in Loop: Header=BB5_4 Depth=1
	s_wait_alu 0xfffe
	s_or_b32 exec_lo, exec_lo, s1
	v_add_co_u32 v2, vcc_lo, v2, 1
	v_dual_fmac_f32 v4, v6, v8 :: v_dual_add_nc_u32 v5, 1, v5
	s_wait_alu 0xfffd
	v_add_co_ci_u32_e64 v3, null, 0, v3, vcc_lo
	s_add_co_i32 s6, s6, -1
	s_wait_alu 0xfffe
	s_cmp_eq_u32 s6, 0
	s_cbranch_scc1 .LBB5_21
.LBB5_4:                                ; =>This Inner Loop Header: Depth=1
	global_load_u8 v7, v[2:3], off
	s_mov_b32 s0, 0
	s_mov_b32 s1, exec_lo
	s_wait_loadcnt 0x0
	v_cmpx_lt_i16_e32 0x7f, v7
	s_wait_alu 0xfffe
	s_xor_b32 s1, exec_lo, s1
	s_cbranch_execnz .LBB5_11
; %bb.5:                                ;   in Loop: Header=BB5_4 Depth=1
	s_wait_alu 0xfffe
	s_or_saveexec_b32 s1, s1
	v_mov_b32_e32 v6, 0x7f800001
	s_wait_alu 0xfffe
	s_xor_b32 exec_lo, exec_lo, s1
	s_cbranch_execnz .LBB5_14
.LBB5_6:                                ;   in Loop: Header=BB5_4 Depth=1
	s_or_b32 exec_lo, exec_lo, s1
	s_and_saveexec_b32 s1, s0
	s_cbranch_execz .LBB5_8
.LBB5_7:                                ;   in Loop: Header=BB5_4 Depth=1
	v_and_b32_e32 v6, 7, v7
	v_lshrrev_b16 v10, 3, v7
	v_lshrrev_b16 v7, 7, v7
	s_delay_alu instid0(VALU_DEP_3) | instskip(NEXT) | instid1(VALU_DEP_3)
	v_clz_i32_u32_e32 v8, v6
	v_and_b32_e32 v10, 15, v10
	s_delay_alu instid0(VALU_DEP_3) | instskip(NEXT) | instid1(VALU_DEP_3)
	v_lshlrev_b32_e32 v7, 31, v7
	v_min_u32_e32 v8, 32, v8
	s_delay_alu instid0(VALU_DEP_3) | instskip(NEXT) | instid1(VALU_DEP_2)
	v_cmp_eq_u16_e32 vcc_lo, 0, v10
	v_subrev_nc_u32_e32 v9, 28, v8
	v_sub_nc_u32_e32 v8, 29, v8
	s_wait_alu 0xfffd
	s_delay_alu instid0(VALU_DEP_1) | instskip(NEXT) | instid1(VALU_DEP_1)
	v_dual_cndmask_b32 v8, v10, v8 :: v_dual_lshlrev_b32 v9, v9, v6
	v_and_b32_e32 v9, 7, v9
	s_delay_alu instid0(VALU_DEP_2) | instskip(NEXT) | instid1(VALU_DEP_2)
	v_lshl_add_u32 v8, v8, 23, 0x3b800000
	v_cndmask_b32_e32 v6, v6, v9, vcc_lo
	s_delay_alu instid0(VALU_DEP_1) | instskip(NEXT) | instid1(VALU_DEP_1)
	v_lshlrev_b32_e32 v6, 20, v6
	v_or3_b32 v6, v7, v8, v6
.LBB5_8:                                ;   in Loop: Header=BB5_4 Depth=1
	s_wait_alu 0xfffe
	s_or_b32 exec_lo, exec_lo, s1
	v_ashrrev_i32_e32 v8, 31, v5
	v_add_co_u32 v7, vcc_lo, s2, v5
	s_mov_b32 s0, 0
	s_mov_b32 s1, exec_lo
	s_wait_alu 0xfffd
	v_add_co_ci_u32_e64 v8, null, s3, v8, vcc_lo
	global_load_u8 v7, v[7:8], off
	s_wait_loadcnt 0x0
	v_cmpx_lt_i16_e32 0x7f, v7
	s_wait_alu 0xfffe
	s_xor_b32 s1, exec_lo, s1
	s_cbranch_execnz .LBB5_15
; %bb.9:                                ;   in Loop: Header=BB5_4 Depth=1
	s_wait_alu 0xfffe
	s_or_saveexec_b32 s1, s1
	v_mov_b32_e32 v8, 0x7f800001
	s_wait_alu 0xfffe
	s_xor_b32 exec_lo, exec_lo, s1
	s_cbranch_execnz .LBB5_18
.LBB5_10:                               ;   in Loop: Header=BB5_4 Depth=1
	s_or_b32 exec_lo, exec_lo, s1
	s_and_saveexec_b32 s1, s0
	s_cbranch_execz .LBB5_3
	s_branch .LBB5_19
.LBB5_11:                               ;   in Loop: Header=BB5_4 Depth=1
	s_mov_b32 s0, -1
	s_mov_b32 s4, exec_lo
	v_cmpx_eq_u16_e32 0x80, v7
; %bb.12:                               ;   in Loop: Header=BB5_4 Depth=1
	s_xor_b32 s0, exec_lo, -1
; %bb.13:                               ;   in Loop: Header=BB5_4 Depth=1
	s_wait_alu 0xfffe
	s_or_b32 exec_lo, exec_lo, s4
	s_delay_alu instid0(SALU_CYCLE_1)
	s_and_b32 s0, s0, exec_lo
	s_or_saveexec_b32 s1, s1
	v_mov_b32_e32 v6, 0x7f800001
	s_wait_alu 0xfffe
	s_xor_b32 exec_lo, exec_lo, s1
	s_cbranch_execz .LBB5_6
.LBB5_14:                               ;   in Loop: Header=BB5_4 Depth=1
	v_cmp_ne_u16_e32 vcc_lo, 0, v7
	v_mov_b32_e32 v6, 0
	s_and_not1_b32 s0, s0, exec_lo
	s_and_b32 s4, vcc_lo, exec_lo
	s_wait_alu 0xfffe
	s_or_b32 s0, s0, s4
	s_or_b32 exec_lo, exec_lo, s1
	s_wait_alu 0xfffe
	s_and_saveexec_b32 s1, s0
	s_cbranch_execnz .LBB5_7
	s_branch .LBB5_8
.LBB5_15:                               ;   in Loop: Header=BB5_4 Depth=1
	s_mov_b32 s0, -1
	s_mov_b32 s4, exec_lo
	v_cmpx_eq_u16_e32 0x80, v7
; %bb.16:                               ;   in Loop: Header=BB5_4 Depth=1
	s_xor_b32 s0, exec_lo, -1
; %bb.17:                               ;   in Loop: Header=BB5_4 Depth=1
	s_wait_alu 0xfffe
	s_or_b32 exec_lo, exec_lo, s4
	s_delay_alu instid0(SALU_CYCLE_1)
	s_and_b32 s0, s0, exec_lo
	s_or_saveexec_b32 s1, s1
	v_mov_b32_e32 v8, 0x7f800001
	s_wait_alu 0xfffe
	s_xor_b32 exec_lo, exec_lo, s1
	s_cbranch_execz .LBB5_10
.LBB5_18:                               ;   in Loop: Header=BB5_4 Depth=1
	v_cmp_ne_u16_e32 vcc_lo, 0, v7
	v_mov_b32_e32 v8, 0
	s_and_not1_b32 s0, s0, exec_lo
	s_and_b32 s4, vcc_lo, exec_lo
	s_wait_alu 0xfffe
	s_or_b32 s0, s0, s4
	s_or_b32 exec_lo, exec_lo, s1
	s_wait_alu 0xfffe
	s_and_saveexec_b32 s1, s0
	s_cbranch_execz .LBB5_3
.LBB5_19:                               ;   in Loop: Header=BB5_4 Depth=1
	v_lshrrev_b16 v11, 3, v7
	s_delay_alu instid0(VALU_DEP_1) | instskip(NEXT) | instid1(VALU_DEP_1)
	v_and_b32_e32 v11, 15, v11
	v_cmp_eq_u16_e32 vcc_lo, 0, v11
	v_and_b32_e32 v8, 7, v7
	v_lshrrev_b16 v7, 7, v7
	s_delay_alu instid0(VALU_DEP_2) | instskip(NEXT) | instid1(VALU_DEP_2)
	v_clz_i32_u32_e32 v9, v8
	v_lshlrev_b32_e32 v7, 31, v7
	s_delay_alu instid0(VALU_DEP_2) | instskip(NEXT) | instid1(VALU_DEP_1)
	v_min_u32_e32 v9, 32, v9
	v_subrev_nc_u32_e32 v10, 28, v9
	v_sub_nc_u32_e32 v9, 29, v9
	s_wait_alu 0xfffd
	s_delay_alu instid0(VALU_DEP_1) | instskip(NEXT) | instid1(VALU_DEP_1)
	v_dual_cndmask_b32 v9, v11, v9 :: v_dual_lshlrev_b32 v10, v10, v8
	v_lshl_add_u32 v9, v9, 23, 0x3b800000
	s_delay_alu instid0(VALU_DEP_2) | instskip(NEXT) | instid1(VALU_DEP_1)
	v_and_b32_e32 v10, 7, v10
	v_cndmask_b32_e32 v8, v8, v10, vcc_lo
	s_delay_alu instid0(VALU_DEP_1) | instskip(NEXT) | instid1(VALU_DEP_1)
	v_lshlrev_b32_e32 v8, 20, v8
	v_or3_b32 v8, v7, v9, v8
	s_branch .LBB5_3
.LBB5_20:
	v_mov_b32_e32 v4, 0
.LBB5_21:
	s_delay_alu instid0(VALU_DEP_1) | instskip(NEXT) | instid1(VALU_DEP_1)
	v_and_b32_e32 v2, 0x7f800000, v4
	v_cmp_ne_u32_e32 vcc_lo, 0x7f800000, v2
	v_mov_b32_e32 v2, 0x80
	s_and_saveexec_b32 s1, vcc_lo
	s_cbranch_execz .LBB5_29
; %bb.22:
	v_mov_b32_e32 v2, 0
	s_mov_b32 s2, exec_lo
	v_cmpx_ne_u32_e32 0, v4
	s_cbranch_execz .LBB5_28
; %bb.23:
	v_bfe_u32 v2, v4, 23, 8
	v_and_b32_e32 v3, 0x7fffff, v4
	s_delay_alu instid0(VALU_DEP_2) | instskip(SKIP_1) | instid1(VALU_DEP_3)
	v_sub_nc_u32_e32 v5, 0x78, v2
	v_cmp_gt_u32_e32 vcc_lo, 0x79, v2
	v_or_b32_e32 v6, 0x800000, v3
	s_wait_alu 0xfffd
	s_delay_alu instid0(VALU_DEP_3) | instskip(SKIP_3) | instid1(VALU_DEP_3)
	v_cndmask_b32_e32 v5, 0, v5, vcc_lo
	v_cmp_eq_u32_e32 vcc_lo, 0, v2
	s_wait_alu 0xfffd
	v_dual_cndmask_b32 v3, v6, v3 :: v_dual_add_nc_u32 v2, 0xffffff89, v2
	v_cndmask_b32_e64 v5, v5, 0x77, vcc_lo
	s_delay_alu instid0(VALU_DEP_2) | instskip(NEXT) | instid1(VALU_DEP_2)
	v_cndmask_b32_e64 v2, v2, 0xffffff8a, vcc_lo
	v_lshrrev_b32_e32 v7, v5, v3
	v_lshl_add_u32 v6, 0x100000, v5, -1
	v_lshlrev_b32_e64 v9, v5, 0x80000
	s_delay_alu instid0(VALU_DEP_4) | instskip(NEXT) | instid1(VALU_DEP_4)
	v_add_nc_u32_e32 v5, v5, v2
	v_bfe_u32 v8, v7, 20, 1
	s_delay_alu instid0(VALU_DEP_4) | instskip(NEXT) | instid1(VALU_DEP_2)
	v_and_b32_e32 v3, v6, v3
	v_add_nc_u32_e32 v6, -1, v8
	s_delay_alu instid0(VALU_DEP_2) | instskip(SKIP_1) | instid1(VALU_DEP_1)
	v_cmp_eq_u32_e64 s0, v3, v9
	s_wait_alu 0xf1ff
	v_cndmask_b32_e64 v3, 0, v6, s0
	v_lshrrev_b32_e32 v6, 23, v7
	s_mov_b32 s0, exec_lo
	s_delay_alu instid0(VALU_DEP_2) | instskip(NEXT) | instid1(VALU_DEP_2)
	v_add_nc_u32_e32 v3, v3, v7
	v_xor_b32_e32 v6, 1, v6
	s_delay_alu instid0(VALU_DEP_2) | instskip(NEXT) | instid1(VALU_DEP_1)
	v_and_b32_e32 v2, 0xfffff, v3
	v_add_nc_u32_e32 v3, v2, v7
                                        ; implicit-def: $vgpr2
	s_delay_alu instid0(VALU_DEP_3)
	v_cmpx_ne_u32_e64 v5, v6
	s_wait_alu 0xfffe
	s_xor_b32 s0, exec_lo, s0
; %bb.24:
	s_delay_alu instid0(VALU_DEP_2) | instskip(SKIP_3) | instid1(VALU_DEP_2)
	v_cmp_lt_u32_e32 vcc_lo, 0xffffff, v3
	v_sub_nc_u32_e32 v2, v5, v6
	s_wait_alu 0xfffd
	v_cndmask_b32_e64 v5, 0, 1, vcc_lo
	v_add_co_ci_u32_e64 v2, null, 0, v2, vcc_lo
	s_delay_alu instid0(VALU_DEP_2)
	v_lshrrev_b32_e32 v3, v5, v3
; %bb.25:
	s_wait_alu 0xfffe
	s_and_not1_saveexec_b32 s0, s0
; %bb.26:
	s_delay_alu instid0(VALU_DEP_1)
	v_bfe_u32 v2, v3, 23, 1
; %bb.27:
	s_wait_alu 0xfffe
	s_or_b32 exec_lo, exec_lo, s0
	v_lshrrev_b32_e32 v3, 20, v3
	s_delay_alu instid0(VALU_DEP_2) | instskip(SKIP_3) | instid1(VALU_DEP_2)
	v_cmp_gt_i32_e32 vcc_lo, 16, v2
	v_lshrrev_b32_e32 v4, 24, v4
	v_min_i32_e32 v5, 15, v2
	s_wait_alu 0xfffd
	v_dual_cndmask_b32 v3, 7, v3 :: v_dual_and_b32 v4, 0x80, v4
	s_delay_alu instid0(VALU_DEP_1) | instskip(SKIP_1) | instid1(VALU_DEP_2)
	v_or_b32_e32 v2, v2, v3
	v_and_b32_e32 v6, 7, v3
	v_cmp_ne_u32_e32 vcc_lo, 0, v2
	v_lshlrev_b32_e32 v5, 3, v5
	s_delay_alu instid0(VALU_DEP_1) | instskip(SKIP_1) | instid1(VALU_DEP_1)
	v_or3_b32 v3, v5, v4, v6
	s_wait_alu 0xfffd
	v_cndmask_b32_e32 v2, 0, v3, vcc_lo
.LBB5_28:
	s_wait_alu 0xfffe
	s_or_b32 exec_lo, exec_lo, s2
.LBB5_29:
	s_wait_alu 0xfffe
	s_or_b32 exec_lo, exec_lo, s1
	v_mad_co_u64_u32 v[0:1], null, v0, s5, v[1:2]
	s_delay_alu instid0(VALU_DEP_1) | instskip(SKIP_3) | instid1(VALU_DEP_2)
	v_ashrrev_i32_e32 v1, 31, v0
	s_wait_kmcnt 0x0
	v_add_co_u32 v0, vcc_lo, s8, v0
	s_wait_alu 0xfffd
	v_add_co_ci_u32_e64 v1, null, s9, v1, vcc_lo
	global_store_b8 v[0:1], v2, off
.LBB5_30:
	s_endpgm
	.section	.rodata,"a",@progbits
	.p2align	6, 0x0
	.amdhsa_kernel _ZN2ck17naive_gemm_kernelINS_13tensor_layout4gemm8RowMajorENS2_11ColumnMajorES3_NS_9f8_fnuz_tES5_S5_fNS_16tensor_operation12element_wise11PassThroughES8_S8_ffEEvPKT2_PKT3_PT4_iiiT6_T7_T8_
		.amdhsa_group_segment_fixed_size 0
		.amdhsa_private_segment_fixed_size 0
		.amdhsa_kernarg_size 296
		.amdhsa_user_sgpr_count 2
		.amdhsa_user_sgpr_dispatch_ptr 0
		.amdhsa_user_sgpr_queue_ptr 0
		.amdhsa_user_sgpr_kernarg_segment_ptr 1
		.amdhsa_user_sgpr_dispatch_id 0
		.amdhsa_user_sgpr_private_segment_size 0
		.amdhsa_wavefront_size32 1
		.amdhsa_uses_dynamic_stack 0
		.amdhsa_enable_private_segment 0
		.amdhsa_system_sgpr_workgroup_id_x 1
		.amdhsa_system_sgpr_workgroup_id_y 1
		.amdhsa_system_sgpr_workgroup_id_z 0
		.amdhsa_system_sgpr_workgroup_info 0
		.amdhsa_system_vgpr_workitem_id 1
		.amdhsa_next_free_vgpr 12
		.amdhsa_next_free_sgpr 10
		.amdhsa_reserve_vcc 1
		.amdhsa_float_round_mode_32 0
		.amdhsa_float_round_mode_16_64 0
		.amdhsa_float_denorm_mode_32 3
		.amdhsa_float_denorm_mode_16_64 3
		.amdhsa_fp16_overflow 0
		.amdhsa_workgroup_processor_mode 1
		.amdhsa_memory_ordered 1
		.amdhsa_forward_progress 1
		.amdhsa_inst_pref_size 11
		.amdhsa_round_robin_scheduling 0
		.amdhsa_exception_fp_ieee_invalid_op 0
		.amdhsa_exception_fp_denorm_src 0
		.amdhsa_exception_fp_ieee_div_zero 0
		.amdhsa_exception_fp_ieee_overflow 0
		.amdhsa_exception_fp_ieee_underflow 0
		.amdhsa_exception_fp_ieee_inexact 0
		.amdhsa_exception_int_div_zero 0
	.end_amdhsa_kernel
	.section	.text._ZN2ck17naive_gemm_kernelINS_13tensor_layout4gemm8RowMajorENS2_11ColumnMajorES3_NS_9f8_fnuz_tES5_S5_fNS_16tensor_operation12element_wise11PassThroughES8_S8_ffEEvPKT2_PKT3_PT4_iiiT6_T7_T8_,"axG",@progbits,_ZN2ck17naive_gemm_kernelINS_13tensor_layout4gemm8RowMajorENS2_11ColumnMajorES3_NS_9f8_fnuz_tES5_S5_fNS_16tensor_operation12element_wise11PassThroughES8_S8_ffEEvPKT2_PKT3_PT4_iiiT6_T7_T8_,comdat
.Lfunc_end5:
	.size	_ZN2ck17naive_gemm_kernelINS_13tensor_layout4gemm8RowMajorENS2_11ColumnMajorES3_NS_9f8_fnuz_tES5_S5_fNS_16tensor_operation12element_wise11PassThroughES8_S8_ffEEvPKT2_PKT3_PT4_iiiT6_T7_T8_, .Lfunc_end5-_ZN2ck17naive_gemm_kernelINS_13tensor_layout4gemm8RowMajorENS2_11ColumnMajorES3_NS_9f8_fnuz_tES5_S5_fNS_16tensor_operation12element_wise11PassThroughES8_S8_ffEEvPKT2_PKT3_PT4_iiiT6_T7_T8_
                                        ; -- End function
	.set _ZN2ck17naive_gemm_kernelINS_13tensor_layout4gemm8RowMajorENS2_11ColumnMajorES3_NS_9f8_fnuz_tES5_S5_fNS_16tensor_operation12element_wise11PassThroughES8_S8_ffEEvPKT2_PKT3_PT4_iiiT6_T7_T8_.num_vgpr, 12
	.set _ZN2ck17naive_gemm_kernelINS_13tensor_layout4gemm8RowMajorENS2_11ColumnMajorES3_NS_9f8_fnuz_tES5_S5_fNS_16tensor_operation12element_wise11PassThroughES8_S8_ffEEvPKT2_PKT3_PT4_iiiT6_T7_T8_.num_agpr, 0
	.set _ZN2ck17naive_gemm_kernelINS_13tensor_layout4gemm8RowMajorENS2_11ColumnMajorES3_NS_9f8_fnuz_tES5_S5_fNS_16tensor_operation12element_wise11PassThroughES8_S8_ffEEvPKT2_PKT3_PT4_iiiT6_T7_T8_.numbered_sgpr, 10
	.set _ZN2ck17naive_gemm_kernelINS_13tensor_layout4gemm8RowMajorENS2_11ColumnMajorES3_NS_9f8_fnuz_tES5_S5_fNS_16tensor_operation12element_wise11PassThroughES8_S8_ffEEvPKT2_PKT3_PT4_iiiT6_T7_T8_.num_named_barrier, 0
	.set _ZN2ck17naive_gemm_kernelINS_13tensor_layout4gemm8RowMajorENS2_11ColumnMajorES3_NS_9f8_fnuz_tES5_S5_fNS_16tensor_operation12element_wise11PassThroughES8_S8_ffEEvPKT2_PKT3_PT4_iiiT6_T7_T8_.private_seg_size, 0
	.set _ZN2ck17naive_gemm_kernelINS_13tensor_layout4gemm8RowMajorENS2_11ColumnMajorES3_NS_9f8_fnuz_tES5_S5_fNS_16tensor_operation12element_wise11PassThroughES8_S8_ffEEvPKT2_PKT3_PT4_iiiT6_T7_T8_.uses_vcc, 1
	.set _ZN2ck17naive_gemm_kernelINS_13tensor_layout4gemm8RowMajorENS2_11ColumnMajorES3_NS_9f8_fnuz_tES5_S5_fNS_16tensor_operation12element_wise11PassThroughES8_S8_ffEEvPKT2_PKT3_PT4_iiiT6_T7_T8_.uses_flat_scratch, 0
	.set _ZN2ck17naive_gemm_kernelINS_13tensor_layout4gemm8RowMajorENS2_11ColumnMajorES3_NS_9f8_fnuz_tES5_S5_fNS_16tensor_operation12element_wise11PassThroughES8_S8_ffEEvPKT2_PKT3_PT4_iiiT6_T7_T8_.has_dyn_sized_stack, 0
	.set _ZN2ck17naive_gemm_kernelINS_13tensor_layout4gemm8RowMajorENS2_11ColumnMajorES3_NS_9f8_fnuz_tES5_S5_fNS_16tensor_operation12element_wise11PassThroughES8_S8_ffEEvPKT2_PKT3_PT4_iiiT6_T7_T8_.has_recursion, 0
	.set _ZN2ck17naive_gemm_kernelINS_13tensor_layout4gemm8RowMajorENS2_11ColumnMajorES3_NS_9f8_fnuz_tES5_S5_fNS_16tensor_operation12element_wise11PassThroughES8_S8_ffEEvPKT2_PKT3_PT4_iiiT6_T7_T8_.has_indirect_call, 0
	.section	.AMDGPU.csdata,"",@progbits
; Kernel info:
; codeLenInByte = 1392
; TotalNumSgprs: 12
; NumVgprs: 12
; ScratchSize: 0
; MemoryBound: 0
; FloatMode: 240
; IeeeMode: 1
; LDSByteSize: 0 bytes/workgroup (compile time only)
; SGPRBlocks: 0
; VGPRBlocks: 1
; NumSGPRsForWavesPerEU: 12
; NumVGPRsForWavesPerEU: 12
; Occupancy: 16
; WaveLimiterHint : 0
; COMPUTE_PGM_RSRC2:SCRATCH_EN: 0
; COMPUTE_PGM_RSRC2:USER_SGPR: 2
; COMPUTE_PGM_RSRC2:TRAP_HANDLER: 0
; COMPUTE_PGM_RSRC2:TGID_X_EN: 1
; COMPUTE_PGM_RSRC2:TGID_Y_EN: 1
; COMPUTE_PGM_RSRC2:TGID_Z_EN: 0
; COMPUTE_PGM_RSRC2:TIDIG_COMP_CNT: 1
	.section	.AMDGPU.gpr_maximums,"",@progbits
	.set amdgpu.max_num_vgpr, 0
	.set amdgpu.max_num_agpr, 0
	.set amdgpu.max_num_sgpr, 0
	.section	.AMDGPU.csdata,"",@progbits
	.type	__hip_cuid_a820f48a2a4fc7b2,@object ; @__hip_cuid_a820f48a2a4fc7b2
	.section	.bss,"aw",@nobits
	.globl	__hip_cuid_a820f48a2a4fc7b2
__hip_cuid_a820f48a2a4fc7b2:
	.byte	0                               ; 0x0
	.size	__hip_cuid_a820f48a2a4fc7b2, 1

	.ident	"AMD clang version 22.0.0git (https://github.com/RadeonOpenCompute/llvm-project roc-7.2.4 26084 f58b06dce1f9c15707c5f808fd002e18c2accf7e)"
	.section	".note.GNU-stack","",@progbits
	.addrsig
	.addrsig_sym __hip_cuid_a820f48a2a4fc7b2
	.amdgpu_metadata
---
amdhsa.kernels:
  - .args:           []
    .group_segment_fixed_size: 0
    .kernarg_segment_align: 4
    .kernarg_segment_size: 0
    .language:       OpenCL C
    .language_version:
      - 2
      - 0
    .max_flat_workgroup_size: 1024
    .name:           _ZN2ckL12flush_icacheEv
    .private_segment_fixed_size: 0
    .sgpr_count:     0
    .sgpr_spill_count: 0
    .symbol:         _ZN2ckL12flush_icacheEv.kd
    .uniform_work_group_size: 1
    .uses_dynamic_stack: false
    .vgpr_count:     0
    .vgpr_spill_count: 0
    .wavefront_size: 32
    .workgroup_processor_mode: 1
  - .args:
      - .offset:         0
        .size:           96
        .value_kind:     by_value
    .group_segment_fixed_size: 0
    .kernarg_segment_align: 8
    .kernarg_segment_size: 96
    .language:       OpenCL C
    .language_version:
      - 2
      - 0
    .max_flat_workgroup_size: 256
    .name:           _ZN2ck27kernel_gemm_xdl_cshuffle_v1INS_43GridwiseGemm_k0mk1_k0nk1_mn_xdl_cshuffle_v1INS_13tensor_layout4gemm8RowMajorENS3_11ColumnMajorES4_NS_9f8_fnuz_tES6_ffS6_NS_16tensor_operation12element_wise11PassThroughES9_S9_LNS7_6device18GemmSpecializationE0ELNS_25InMemoryDataOperationEnumE0ELi1ELi256ELi256ELi128ELi64ELi16ELi16ELi16ELi16ELi8ELi4ENS_8SequenceIJLi4ELi64ELi1EEEENSD_IJLi1ELi0ELi2EEEESF_Li2ELi16ELi16ELb0ELi1ESE_SF_SF_Li2ELi8ELi8ELb0ELi1ELi1ELi1ENSD_IJLi1ELi32ELi1ELi8EEEELi4ELNS_13LoopSchedulerE0ELNS_15PipelineVersionE0ES6_S6_EELb1EEEvNT_8ArgumentE
    .private_segment_fixed_size: 0
    .sgpr_count:     0
    .sgpr_spill_count: 0
    .symbol:         _ZN2ck27kernel_gemm_xdl_cshuffle_v1INS_43GridwiseGemm_k0mk1_k0nk1_mn_xdl_cshuffle_v1INS_13tensor_layout4gemm8RowMajorENS3_11ColumnMajorES4_NS_9f8_fnuz_tES6_ffS6_NS_16tensor_operation12element_wise11PassThroughES9_S9_LNS7_6device18GemmSpecializationE0ELNS_25InMemoryDataOperationEnumE0ELi1ELi256ELi256ELi128ELi64ELi16ELi16ELi16ELi16ELi8ELi4ENS_8SequenceIJLi4ELi64ELi1EEEENSD_IJLi1ELi0ELi2EEEESF_Li2ELi16ELi16ELb0ELi1ESE_SF_SF_Li2ELi8ELi8ELb0ELi1ELi1ELi1ENSD_IJLi1ELi32ELi1ELi8EEEELi4ELNS_13LoopSchedulerE0ELNS_15PipelineVersionE0ES6_S6_EELb1EEEvNT_8ArgumentE.kd
    .uniform_work_group_size: 1
    .uses_dynamic_stack: false
    .vgpr_count:     0
    .vgpr_spill_count: 0
    .wavefront_size: 32
    .workgroup_processor_mode: 1
  - .args:
      - .offset:         0
        .size:           96
        .value_kind:     by_value
    .group_segment_fixed_size: 0
    .kernarg_segment_align: 8
    .kernarg_segment_size: 96
    .language:       OpenCL C
    .language_version:
      - 2
      - 0
    .max_flat_workgroup_size: 256
    .name:           _ZN2ck27kernel_gemm_xdl_cshuffle_v1INS_43GridwiseGemm_k0mk1_k0nk1_mn_xdl_cshuffle_v1INS_13tensor_layout4gemm8RowMajorENS3_11ColumnMajorES4_NS_9f8_fnuz_tES6_ffS6_NS_16tensor_operation12element_wise11PassThroughES9_S9_LNS7_6device18GemmSpecializationE0ELNS_25InMemoryDataOperationEnumE0ELi1ELi256ELi256ELi128ELi64ELi16ELi16ELi16ELi16ELi8ELi4ENS_8SequenceIJLi4ELi64ELi1EEEENSD_IJLi1ELi0ELi2EEEESF_Li2ELi16ELi16ELb0ELi1ESE_SF_SF_Li2ELi8ELi8ELb0ELi1ELi1ELi1ENSD_IJLi1ELi32ELi1ELi8EEEELi4ELNS_13LoopSchedulerE0ELNS_15PipelineVersionE0ES6_S6_EELb0EEEvNT_8ArgumentE
    .private_segment_fixed_size: 0
    .sgpr_count:     0
    .sgpr_spill_count: 0
    .symbol:         _ZN2ck27kernel_gemm_xdl_cshuffle_v1INS_43GridwiseGemm_k0mk1_k0nk1_mn_xdl_cshuffle_v1INS_13tensor_layout4gemm8RowMajorENS3_11ColumnMajorES4_NS_9f8_fnuz_tES6_ffS6_NS_16tensor_operation12element_wise11PassThroughES9_S9_LNS7_6device18GemmSpecializationE0ELNS_25InMemoryDataOperationEnumE0ELi1ELi256ELi256ELi128ELi64ELi16ELi16ELi16ELi16ELi8ELi4ENS_8SequenceIJLi4ELi64ELi1EEEENSD_IJLi1ELi0ELi2EEEESF_Li2ELi16ELi16ELb0ELi1ESE_SF_SF_Li2ELi8ELi8ELb0ELi1ELi1ELi1ENSD_IJLi1ELi32ELi1ELi8EEEELi4ELNS_13LoopSchedulerE0ELNS_15PipelineVersionE0ES6_S6_EELb0EEEvNT_8ArgumentE.kd
    .uniform_work_group_size: 1
    .uses_dynamic_stack: false
    .vgpr_count:     0
    .vgpr_spill_count: 0
    .wavefront_size: 32
    .workgroup_processor_mode: 1
  - .args:
      - .offset:         0
        .size:           96
        .value_kind:     by_value
    .group_segment_fixed_size: 24672
    .kernarg_segment_align: 8
    .kernarg_segment_size: 96
    .language:       OpenCL C
    .language_version:
      - 2
      - 0
    .max_flat_workgroup_size: 256
    .name:           _ZN2ck27kernel_gemm_xdl_cshuffle_v1INS_43GridwiseGemm_k0mk1_k0nk1_mn_xdl_cshuffle_v1INS_13tensor_layout4gemm8RowMajorENS3_11ColumnMajorES4_NS_9f8_fnuz_tES6_ffS6_NS_16tensor_operation12element_wise11PassThroughES9_S9_LNS7_6device18GemmSpecializationE0ELNS_25InMemoryDataOperationEnumE0ELi1ELi256ELi256ELi128ELi64ELi16ELi16ELi16ELi16ELi8ELi2ENS_8SequenceIJLi4ELi64ELi1EEEENSD_IJLi1ELi0ELi2EEEESF_Li2ELi16ELi16ELb0ELi1ESE_SF_SF_Li2ELi8ELi8ELb0ELi1ELi1ELi1ENSD_IJLi1ELi32ELi1ELi8EEEELi4ELNS_13LoopSchedulerE0ELNS_15PipelineVersionE0ES6_S6_EELb1EEEvNT_8ArgumentE
    .private_segment_fixed_size: 0
    .sgpr_count:     34
    .sgpr_spill_count: 0
    .symbol:         _ZN2ck27kernel_gemm_xdl_cshuffle_v1INS_43GridwiseGemm_k0mk1_k0nk1_mn_xdl_cshuffle_v1INS_13tensor_layout4gemm8RowMajorENS3_11ColumnMajorES4_NS_9f8_fnuz_tES6_ffS6_NS_16tensor_operation12element_wise11PassThroughES9_S9_LNS7_6device18GemmSpecializationE0ELNS_25InMemoryDataOperationEnumE0ELi1ELi256ELi256ELi128ELi64ELi16ELi16ELi16ELi16ELi8ELi2ENS_8SequenceIJLi4ELi64ELi1EEEENSD_IJLi1ELi0ELi2EEEESF_Li2ELi16ELi16ELb0ELi1ESE_SF_SF_Li2ELi8ELi8ELb0ELi1ELi1ELi1ENSD_IJLi1ELi32ELi1ELi8EEEELi4ELNS_13LoopSchedulerE0ELNS_15PipelineVersionE0ES6_S6_EELb1EEEvNT_8ArgumentE.kd
    .uniform_work_group_size: 1
    .uses_dynamic_stack: false
    .vgpr_count:     215
    .vgpr_spill_count: 0
    .wavefront_size: 32
    .workgroup_processor_mode: 1
  - .args:
      - .offset:         0
        .size:           96
        .value_kind:     by_value
    .group_segment_fixed_size: 24672
    .kernarg_segment_align: 8
    .kernarg_segment_size: 96
    .language:       OpenCL C
    .language_version:
      - 2
      - 0
    .max_flat_workgroup_size: 256
    .name:           _ZN2ck27kernel_gemm_xdl_cshuffle_v1INS_43GridwiseGemm_k0mk1_k0nk1_mn_xdl_cshuffle_v1INS_13tensor_layout4gemm8RowMajorENS3_11ColumnMajorES4_NS_9f8_fnuz_tES6_ffS6_NS_16tensor_operation12element_wise11PassThroughES9_S9_LNS7_6device18GemmSpecializationE0ELNS_25InMemoryDataOperationEnumE0ELi1ELi256ELi256ELi128ELi64ELi16ELi16ELi16ELi16ELi8ELi2ENS_8SequenceIJLi4ELi64ELi1EEEENSD_IJLi1ELi0ELi2EEEESF_Li2ELi16ELi16ELb0ELi1ESE_SF_SF_Li2ELi8ELi8ELb0ELi1ELi1ELi1ENSD_IJLi1ELi32ELi1ELi8EEEELi4ELNS_13LoopSchedulerE0ELNS_15PipelineVersionE0ES6_S6_EELb0EEEvNT_8ArgumentE
    .private_segment_fixed_size: 0
    .sgpr_count:     28
    .sgpr_spill_count: 0
    .symbol:         _ZN2ck27kernel_gemm_xdl_cshuffle_v1INS_43GridwiseGemm_k0mk1_k0nk1_mn_xdl_cshuffle_v1INS_13tensor_layout4gemm8RowMajorENS3_11ColumnMajorES4_NS_9f8_fnuz_tES6_ffS6_NS_16tensor_operation12element_wise11PassThroughES9_S9_LNS7_6device18GemmSpecializationE0ELNS_25InMemoryDataOperationEnumE0ELi1ELi256ELi256ELi128ELi64ELi16ELi16ELi16ELi16ELi8ELi2ENS_8SequenceIJLi4ELi64ELi1EEEENSD_IJLi1ELi0ELi2EEEESF_Li2ELi16ELi16ELb0ELi1ESE_SF_SF_Li2ELi8ELi8ELb0ELi1ELi1ELi1ENSD_IJLi1ELi32ELi1ELi8EEEELi4ELNS_13LoopSchedulerE0ELNS_15PipelineVersionE0ES6_S6_EELb0EEEvNT_8ArgumentE.kd
    .uniform_work_group_size: 1
    .uses_dynamic_stack: false
    .vgpr_count:     100
    .vgpr_spill_count: 0
    .wavefront_size: 32
    .workgroup_processor_mode: 1
  - .args:
      - .actual_access:  read_only
        .address_space:  global
        .offset:         0
        .size:           8
        .value_kind:     global_buffer
      - .actual_access:  read_only
        .address_space:  global
        .offset:         8
        .size:           8
        .value_kind:     global_buffer
      - .actual_access:  write_only
        .address_space:  global
        .offset:         16
        .size:           8
        .value_kind:     global_buffer
      - .offset:         24
        .size:           4
        .value_kind:     by_value
      - .offset:         28
        .size:           4
        .value_kind:     by_value
      - .offset:         32
        .size:           4
        .value_kind:     by_value
      - .offset:         36
        .size:           1
        .value_kind:     by_value
      - .offset:         37
        .size:           1
        .value_kind:     by_value
      - .offset:         38
        .size:           1
        .value_kind:     by_value
      - .offset:         40
        .size:           4
        .value_kind:     hidden_block_count_x
      - .offset:         44
        .size:           4
        .value_kind:     hidden_block_count_y
      - .offset:         48
        .size:           4
        .value_kind:     hidden_block_count_z
      - .offset:         52
        .size:           2
        .value_kind:     hidden_group_size_x
      - .offset:         54
        .size:           2
        .value_kind:     hidden_group_size_y
      - .offset:         56
        .size:           2
        .value_kind:     hidden_group_size_z
      - .offset:         58
        .size:           2
        .value_kind:     hidden_remainder_x
      - .offset:         60
        .size:           2
        .value_kind:     hidden_remainder_y
      - .offset:         62
        .size:           2
        .value_kind:     hidden_remainder_z
      - .offset:         80
        .size:           8
        .value_kind:     hidden_global_offset_x
      - .offset:         88
        .size:           8
        .value_kind:     hidden_global_offset_y
      - .offset:         96
        .size:           8
        .value_kind:     hidden_global_offset_z
      - .offset:         104
        .size:           2
        .value_kind:     hidden_grid_dims
    .group_segment_fixed_size: 0
    .kernarg_segment_align: 8
    .kernarg_segment_size: 296
    .language:       OpenCL C
    .language_version:
      - 2
      - 0
    .max_flat_workgroup_size: 256
    .name:           _ZN2ck17naive_gemm_kernelINS_13tensor_layout4gemm8RowMajorENS2_11ColumnMajorES3_NS_9f8_fnuz_tES5_S5_fNS_16tensor_operation12element_wise11PassThroughES8_S8_ffEEvPKT2_PKT3_PT4_iiiT6_T7_T8_
    .private_segment_fixed_size: 0
    .sgpr_count:     12
    .sgpr_spill_count: 0
    .symbol:         _ZN2ck17naive_gemm_kernelINS_13tensor_layout4gemm8RowMajorENS2_11ColumnMajorES3_NS_9f8_fnuz_tES5_S5_fNS_16tensor_operation12element_wise11PassThroughES8_S8_ffEEvPKT2_PKT3_PT4_iiiT6_T7_T8_.kd
    .uniform_work_group_size: 1
    .uses_dynamic_stack: false
    .vgpr_count:     12
    .vgpr_spill_count: 0
    .wavefront_size: 32
    .workgroup_processor_mode: 1
amdhsa.target:   amdgcn-amd-amdhsa--gfx1201
amdhsa.version:
  - 1
  - 2
...

	.end_amdgpu_metadata
